;; amdgpu-corpus repo=zjin-lcf/HeCBench kind=compiled arch=gfx1250 opt=O3
	.amdgcn_target "amdgcn-amd-amdhsa--gfx1250"
	.amdhsa_code_object_version 6
	.text
	.protected	_Z14calculateForcePA400_A400_dS1_S1_S1_dddddd ; -- Begin function _Z14calculateForcePA400_A400_dS1_S1_S1_dddddd
	.globl	_Z14calculateForcePA400_A400_dS1_S1_S1_dddddd
	.p2align	8
	.type	_Z14calculateForcePA400_A400_dS1_S1_S1_dddddd,@function
_Z14calculateForcePA400_A400_dS1_S1_S1_dddddd: ; @_Z14calculateForcePA400_A400_dS1_S1_S1_dddddd
; %bb.0:
	s_load_b64 s[2:3], s[0:1], 0x5c
	s_bfe_u32 s5, ttmp6, 0x40014
	s_bfe_u32 s8, ttmp6, 0x40010
	;; [unrolled: 1-line block ×3, first 2 shown]
	s_lshr_b32 s4, ttmp7, 16
	s_and_b32 s7, ttmp7, 0xffff
	s_add_co_i32 s5, s5, 1
	s_add_co_i32 s8, s8, 1
	;; [unrolled: 1-line block ×3, first 2 shown]
	s_bfe_u32 s6, ttmp6, 0x40008
	s_bfe_u32 s9, ttmp6, 0x40004
	s_and_b32 s10, ttmp6, 15
	s_mul_i32 s5, s4, s5
	s_mul_i32 s8, s7, s8
	s_mul_i32 s11, ttmp9, s11
	s_getreg_b32 s12, hwreg(HW_REG_IB_STS2, 6, 4)
	s_add_co_i32 s6, s6, s5
	s_add_co_i32 s5, s9, s8
	;; [unrolled: 1-line block ×3, first 2 shown]
	v_and_b32_e32 v1, 0x3ff, v0
	s_wait_kmcnt 0x0
	s_and_b32 s3, s3, 0xffff
	s_lshr_b32 s24, s2, 16
	s_and_b32 s2, s2, 0xffff
	s_cmp_eq_u32 s12, 0
	s_load_b512 s[8:23], s[0:1], 0x0
	v_bfe_u32 v2, v0, 10, 10
	v_bfe_u32 v3, v0, 20, 10
	s_cselect_b32 s25, ttmp9, s25
	s_cselect_b32 s4, s4, s6
	v_mad_u32 v0, s25, s2, v1
	s_cselect_b32 s2, s7, s5
	v_mad_u32 v38, s4, s3, v3
	v_mad_u32 v2, s2, s24, v2
	v_mov_b32_e32 v3, 0
	s_delay_alu instid0(VALU_DEP_4) | instskip(NEXT) | instid1(VALU_DEP_4)
	v_cmp_eq_u32_e64 s4, 0, v0
	v_cmp_eq_u32_e32 vcc_lo, 0, v38
	s_delay_alu instid0(VALU_DEP_4)
	v_max3_u32 v1, v0, v2, v38
	v_cmp_eq_u32_e64 s2, 0, v2
	s_wait_kmcnt 0x0
	v_mad_nc_u64_u32 v[6:7], 0x138800, v38, s[10:11]
	v_mad_nc_u64_u32 v[4:5], 0x138800, v38, s[12:13]
	v_cmp_lt_u32_e64 s3, 0x18e, v1
	s_or_b32 s2, vcc_lo, s2
	s_delay_alu instid0(SALU_CYCLE_1) | instskip(NEXT) | instid1(SALU_CYCLE_1)
	s_or_b32 s2, s2, s3
	s_or_b32 s2, s4, s2
	s_delay_alu instid0(SALU_CYCLE_1) | instskip(NEXT) | instid1(SALU_CYCLE_1)
	s_and_saveexec_b32 s3, s2
	s_xor_b32 s2, exec_lo, s3
	s_cbranch_execz .LBB0_2
; %bb.1:
	v_mov_b32_e32 v1, v3
	v_mad_nc_u64_u32 v[6:7], 0xc80, v2, v[6:7]
	v_mad_nc_u64_u32 v[4:5], 0xc80, v2, v[4:5]
	v_mov_b64_e32 v[10:11], 0
	s_delay_alu instid0(VALU_DEP_4) | instskip(NEXT) | instid1(VALU_DEP_1)
	v_lshlrev_b64_e32 v[8:9], 3, v[0:1]
	v_add_nc_u64_e32 v[6:7], v[6:7], v[8:9]
	s_delay_alu instid0(VALU_DEP_4)
	v_add_nc_u64_e32 v[4:5], v[4:5], v[8:9]
	global_store_b64 v[6:7], v[10:11], off
	global_store_b64 v[4:5], v[10:11], off
                                        ; implicit-def: $vgpr4_vgpr5
                                        ; implicit-def: $vgpr6_vgpr7
.LBB0_2:
	s_wait_xcnt 0x0
	s_or_saveexec_b32 s6, s2
	v_mov_b64_e32 v[10:11], 0
	s_xor_b32 exec_lo, exec_lo, s6
	s_cbranch_execz .LBB0_14
; %bb.3:
	v_mad_nc_u64_u32 v[8:9], 0x138800, v38, s[8:9]
	v_mov_b32_e32 v3, 0
	v_add_f64_e64 v[24:25], s[20:21], s[20:21]
	s_delay_alu instid0(VALU_DEP_2) | instskip(NEXT) | instid1(VALU_DEP_4)
	v_mov_b32_e32 v1, v3
	v_mad_nc_u64_u32 v[8:9], 0xc80, v2, v[8:9]
	s_delay_alu instid0(VALU_DEP_1)
	v_lshl_add_u64 v[8:9], v[0:1], 3, v[8:9]
	s_clause 0x5
	global_load_b64 v[10:11], v[8:9], off offset:-1280000
	global_load_b64 v[12:13], v[8:9], off offset:1280000
	global_load_b64 v[14:15], v[8:9], off offset:3200
	global_load_b64 v[16:17], v[8:9], off offset:-3200
	global_load_b64 v[18:19], v[8:9], off offset:8
	global_load_b64 v[20:21], v[8:9], off offset:-8
	s_wait_xcnt 0x0
	v_add_f64_e64 v[8:9], s[16:17], s[16:17]
	s_wait_loadcnt 0x4
	v_add_f64_e64 v[10:11], v[12:13], -v[10:11]
	v_add_f64_e64 v[12:13], s[18:19], s[18:19]
	s_wait_loadcnt 0x2
	v_add_f64_e64 v[14:15], v[14:15], -v[16:17]
	s_wait_loadcnt 0x0
	v_add_f64_e64 v[18:19], v[18:19], -v[20:21]
	s_delay_alu instid0(VALU_DEP_4) | instskip(NEXT) | instid1(VALU_DEP_3)
	v_div_scale_f64 v[16:17], null, v[8:9], v[8:9], v[10:11]
	v_div_scale_f64 v[22:23], null, v[12:13], v[12:13], v[14:15]
	s_delay_alu instid0(VALU_DEP_3) | instskip(SKIP_1) | instid1(VALU_DEP_4)
	v_div_scale_f64 v[28:29], null, v[24:25], v[24:25], v[18:19]
	v_div_scale_f64 v[44:45], s3, v[18:19], v[24:25], v[18:19]
	v_rcp_f64_e32 v[20:21], v[16:17]
	s_delay_alu instid0(VALU_DEP_3) | instskip(NEXT) | instid1(VALU_DEP_2)
	v_rcp_f64_e32 v[26:27], v[22:23]
	v_rcp_f64_e32 v[34:35], v[28:29]
	s_delay_alu instid0(TRANS32_DEP_3) | instskip(NEXT) | instid1(TRANS32_DEP_2)
	v_fma_f64 v[30:31], -v[16:17], v[20:21], 1.0
	v_fma_f64 v[32:33], -v[22:23], v[26:27], 1.0
	s_delay_alu instid0(VALU_DEP_2) | instskip(NEXT) | instid1(TRANS32_DEP_1)
	v_fmac_f64_e32 v[20:21], v[20:21], v[30:31]
	v_fma_f64 v[30:31], -v[28:29], v[34:35], 1.0
	s_delay_alu instid0(VALU_DEP_3) | instskip(NEXT) | instid1(VALU_DEP_3)
	v_fmac_f64_e32 v[26:27], v[26:27], v[32:33]
	v_fma_f64 v[32:33], -v[16:17], v[20:21], 1.0
	s_delay_alu instid0(VALU_DEP_3) | instskip(NEXT) | instid1(VALU_DEP_3)
	v_fmac_f64_e32 v[34:35], v[34:35], v[30:31]
	v_fma_f64 v[36:37], -v[22:23], v[26:27], 1.0
	v_div_scale_f64 v[30:31], vcc_lo, v[10:11], v[8:9], v[10:11]
	s_delay_alu instid0(VALU_DEP_4) | instskip(SKIP_1) | instid1(VALU_DEP_4)
	v_fmac_f64_e32 v[20:21], v[20:21], v[32:33]
	v_div_scale_f64 v[32:33], s2, v[14:15], v[12:13], v[14:15]
	v_fmac_f64_e32 v[26:27], v[26:27], v[36:37]
	v_fma_f64 v[36:37], -v[28:29], v[34:35], 1.0
	s_delay_alu instid0(VALU_DEP_4) | instskip(NEXT) | instid1(VALU_DEP_3)
	v_mul_f64_e32 v[40:41], v[30:31], v[20:21]
	v_mul_f64_e32 v[42:43], v[32:33], v[26:27]
	s_delay_alu instid0(VALU_DEP_3) | instskip(NEXT) | instid1(VALU_DEP_3)
	v_fmac_f64_e32 v[34:35], v[34:35], v[36:37]
	v_fma_f64 v[16:17], -v[16:17], v[40:41], v[30:31]
	s_delay_alu instid0(VALU_DEP_3) | instskip(NEXT) | instid1(VALU_DEP_3)
	v_fma_f64 v[22:23], -v[22:23], v[42:43], v[32:33]
	v_mul_f64_e32 v[30:31], v[44:45], v[34:35]
	s_delay_alu instid0(VALU_DEP_3) | instskip(SKIP_1) | instid1(VALU_DEP_3)
	v_div_fmas_f64 v[16:17], v[16:17], v[20:21], v[40:41]
	s_mov_b32 vcc_lo, s2
	v_div_fmas_f64 v[20:21], v[22:23], v[26:27], v[42:43]
	s_delay_alu instid0(VALU_DEP_3) | instskip(SKIP_1) | instid1(VALU_DEP_2)
	v_fma_f64 v[22:23], -v[28:29], v[30:31], v[44:45]
	s_mov_b32 vcc_lo, s3
                                        ; implicit-def: $vgpr28_vgpr29
	v_div_fixup_f64 v[14:15], v[20:21], v[12:13], v[14:15]
	s_delay_alu instid0(VALU_DEP_2) | instskip(SKIP_1) | instid1(VALU_DEP_3)
	v_div_fmas_f64 v[12:13], v[22:23], v[34:35], v[30:31]
	v_div_fixup_f64 v[20:21], v[16:17], v[8:9], v[10:11]
	v_mul_f64_e32 v[10:11], v[14:15], v[14:15]
	s_delay_alu instid0(VALU_DEP_3) | instskip(NEXT) | instid1(VALU_DEP_3)
	v_div_fixup_f64 v[8:9], v[12:13], v[24:25], v[18:19]
	v_cmp_neq_f64_e64 s2, 0, v[20:21]
	v_cmp_neq_f64_e64 s3, 0, v[14:15]
	s_delay_alu instid0(VALU_DEP_4) | instskip(NEXT) | instid1(VALU_DEP_4)
	v_fma_f64 v[12:13], v[20:21], v[20:21], v[10:11]
	v_cmp_neq_f64_e64 s4, 0, v[8:9]
	s_or_b32 s5, s2, s3
	v_fma_f64 v[24:25], v[8:9], v[8:9], v[12:13]
	s_or_b32 s7, s5, s4
	s_delay_alu instid0(SALU_CYCLE_1) | instskip(NEXT) | instid1(SALU_CYCLE_1)
	s_xor_b32 s5, s7, -1
	s_and_saveexec_b32 s8, s5
	s_delay_alu instid0(SALU_CYCLE_1)
	s_xor_b32 s5, exec_lo, s8
; %bb.4:
	v_mov_b64_e32 v[16:17], 1.0
	s_delay_alu instid0(VALU_DEP_1)
	v_fmamk_f64 v[28:29], s[22:23], 0xbffaaaaaaaaaaaab, v[16:17]
; %bb.5:
	s_or_saveexec_b32 s8, s5
	v_mul_f64_e32 v[22:23], v[20:21], v[20:21]
	v_mul_f64_e32 v[16:17], v[10:11], v[10:11]
	;; [unrolled: 1-line block ×4, first 2 shown]
	s_delay_alu instid0(VALU_DEP_3)
	v_fmac_f64_e32 v[16:17], v[22:23], v[22:23]
	s_xor_b32 exec_lo, exec_lo, s8
	s_cbranch_execz .LBB0_7
; %bb.6:
	v_mul_f64_e64 v[28:29], s[22:23], 4.0
	s_delay_alu instid0(VALU_DEP_2) | instskip(SKIP_1) | instid1(VALU_DEP_1)
	v_fma_f64 v[30:31], v[18:19], v[18:19], v[16:17]
	v_mov_b64_e32 v[32:33], 1.0
	v_fmamk_f64 v[32:33], s[22:23], 0xc0080000, v[32:33]
	s_delay_alu instid0(VALU_DEP_1) | instskip(NEXT) | instid1(VALU_DEP_4)
	v_div_scale_f64 v[34:35], null, v[32:33], v[32:33], v[28:29]
	v_div_scale_f64 v[36:37], null, v[26:27], v[26:27], v[30:31]
	v_div_scale_f64 v[48:49], vcc_lo, v[28:29], v[32:33], v[28:29]
	s_delay_alu instid0(VALU_DEP_3) | instskip(NEXT) | instid1(VALU_DEP_2)
	v_rcp_f64_e32 v[40:41], v[34:35]
	v_rcp_f64_e32 v[42:43], v[36:37]
	s_delay_alu instid0(TRANS32_DEP_2) | instskip(NEXT) | instid1(TRANS32_DEP_1)
	v_fma_f64 v[44:45], -v[34:35], v[40:41], 1.0
	v_fma_f64 v[46:47], -v[36:37], v[42:43], 1.0
	s_delay_alu instid0(VALU_DEP_2) | instskip(NEXT) | instid1(VALU_DEP_2)
	v_fmac_f64_e32 v[40:41], v[40:41], v[44:45]
	v_fmac_f64_e32 v[42:43], v[42:43], v[46:47]
	s_delay_alu instid0(VALU_DEP_2) | instskip(NEXT) | instid1(VALU_DEP_2)
	v_fma_f64 v[44:45], -v[34:35], v[40:41], 1.0
	v_fma_f64 v[46:47], -v[36:37], v[42:43], 1.0
	s_delay_alu instid0(VALU_DEP_2) | instskip(SKIP_1) | instid1(VALU_DEP_3)
	v_fmac_f64_e32 v[40:41], v[40:41], v[44:45]
	v_div_scale_f64 v[44:45], s5, v[30:31], v[26:27], v[30:31]
	v_fmac_f64_e32 v[42:43], v[42:43], v[46:47]
	s_delay_alu instid0(VALU_DEP_3) | instskip(NEXT) | instid1(VALU_DEP_2)
	v_mul_f64_e32 v[46:47], v[48:49], v[40:41]
	v_mul_f64_e32 v[50:51], v[44:45], v[42:43]
	s_delay_alu instid0(VALU_DEP_2) | instskip(NEXT) | instid1(VALU_DEP_2)
	v_fma_f64 v[34:35], -v[34:35], v[46:47], v[48:49]
	v_fma_f64 v[36:37], -v[36:37], v[50:51], v[44:45]
	s_delay_alu instid0(VALU_DEP_2) | instskip(SKIP_1) | instid1(VALU_DEP_2)
	v_div_fmas_f64 v[34:35], v[34:35], v[40:41], v[46:47]
	s_mov_b32 vcc_lo, s5
	v_div_fmas_f64 v[36:37], v[36:37], v[42:43], v[50:51]
	s_delay_alu instid0(VALU_DEP_2) | instskip(NEXT) | instid1(VALU_DEP_2)
	v_div_fixup_f64 v[28:29], v[34:35], v[32:33], v[28:29]
	v_div_fixup_f64 v[30:31], v[36:37], v[26:27], v[30:31]
	s_delay_alu instid0(VALU_DEP_1) | instskip(NEXT) | instid1(VALU_DEP_1)
	v_fma_f64 v[28:29], v[28:29], v[30:31], 1.0
	v_mul_f64_e32 v[28:29], v[32:33], v[28:29]
.LBB0_7:
	s_or_b32 exec_lo, exec_lo, s8
	s_delay_alu instid0(VALU_DEP_3)
	v_add_f64_e32 v[32:33], v[10:11], v[18:19]
	v_mul_f64_e32 v[30:31], v[18:19], v[18:19]
	v_mov_b64_e32 v[34:35], 0
	v_mov_b64_e32 v[36:37], 0
	s_and_saveexec_b32 s5, s7
	s_cbranch_execz .LBB0_9
; %bb.8:
	s_delay_alu instid0(VALU_DEP_3) | instskip(SKIP_1) | instid1(VALU_DEP_2)
	v_fma_f64 v[36:37], v[10:11], v[10:11], v[30:31]
	v_mul_f64_e32 v[40:41], v[20:21], v[22:23]
	v_mul_f64_e32 v[36:37], v[20:21], v[36:37]
	s_delay_alu instid0(VALU_DEP_1) | instskip(NEXT) | instid1(VALU_DEP_1)
	v_fma_f64 v[36:37], v[40:41], v[32:33], -v[36:37]
	v_div_scale_f64 v[40:41], null, v[26:27], v[26:27], v[36:37]
	s_delay_alu instid0(VALU_DEP_1) | instskip(SKIP_1) | instid1(TRANS32_DEP_1)
	v_rcp_f64_e32 v[42:43], v[40:41]
	v_nop
	v_fma_f64 v[44:45], -v[40:41], v[42:43], 1.0
	s_delay_alu instid0(VALU_DEP_1) | instskip(NEXT) | instid1(VALU_DEP_1)
	v_fmac_f64_e32 v[42:43], v[42:43], v[44:45]
	v_fma_f64 v[44:45], -v[40:41], v[42:43], 1.0
	s_delay_alu instid0(VALU_DEP_1) | instskip(SKIP_1) | instid1(VALU_DEP_1)
	v_fmac_f64_e32 v[42:43], v[42:43], v[44:45]
	v_div_scale_f64 v[44:45], vcc_lo, v[36:37], v[26:27], v[36:37]
	v_mul_f64_e32 v[46:47], v[44:45], v[42:43]
	s_delay_alu instid0(VALU_DEP_1) | instskip(NEXT) | instid1(VALU_DEP_1)
	v_fma_f64 v[40:41], -v[40:41], v[46:47], v[44:45]
	v_div_fmas_f64 v[40:41], v[40:41], v[42:43], v[46:47]
	s_delay_alu instid0(VALU_DEP_1)
	v_div_fixup_f64 v[36:37], v[40:41], v[26:27], v[36:37]
.LBB0_9:
	s_or_b32 exec_lo, exec_lo, s5
	s_load_b64 s[0:1], s[0:1], 0x40
	v_mad_nc_u64_u32 v[6:7], 0xc80, v2, v[6:7]
	s_delay_alu instid0(VALU_DEP_1) | instskip(SKIP_4) | instid1(SALU_CYCLE_1)
	v_lshl_add_u64 v[6:7], v[0:1], 3, v[6:7]
	s_wait_kmcnt 0x0
	v_ldexp_f64 v[26:27], s[0:1], 4
	v_mul_f64_e32 v[28:29], s[0:1], v[28:29]
	s_or_b32 s0, s3, s4
	s_or_b32 s1, s2, s0
	s_delay_alu instid0(VALU_DEP_2) | instskip(NEXT) | instid1(VALU_DEP_2)
	v_mul_f64_e32 v[26:27], s[22:23], v[26:27]
	v_mul_f64_e32 v[24:25], v[24:25], v[28:29]
	s_delay_alu instid0(VALU_DEP_1) | instskip(SKIP_1) | instid1(VALU_DEP_2)
	v_mul_f64_e32 v[26:27], v[26:27], v[24:25]
	v_mul_f64_e32 v[24:25], v[28:29], v[28:29]
	;; [unrolled: 1-line block ×3, first 2 shown]
	s_delay_alu instid0(VALU_DEP_1)
	v_fmac_f64_e32 v[28:29], v[20:21], v[24:25]
	v_add_f64_e32 v[20:21], v[22:23], v[18:19]
	global_store_b64 v[6:7], v[28:29], off
	s_wait_xcnt 0x0
	s_and_saveexec_b32 s0, s1
	s_cbranch_execz .LBB0_11
; %bb.10:
	v_fmac_f64_e32 v[30:31], v[22:23], v[22:23]
	v_mul_f64_e32 v[6:7], v[14:15], v[10:11]
	v_add_f64_e32 v[22:23], v[22:23], v[32:33]
	s_delay_alu instid0(VALU_DEP_3) | instskip(NEXT) | instid1(VALU_DEP_2)
	v_mul_f64_e32 v[28:29], v[14:15], v[30:31]
	v_mul_f64_e32 v[22:23], v[22:23], v[22:23]
	s_delay_alu instid0(VALU_DEP_2) | instskip(NEXT) | instid1(VALU_DEP_1)
	v_fma_f64 v[6:7], v[6:7], v[20:21], -v[28:29]
	v_div_scale_f64 v[28:29], null, v[22:23], v[22:23], v[6:7]
	s_delay_alu instid0(VALU_DEP_1) | instskip(SKIP_1) | instid1(TRANS32_DEP_1)
	v_rcp_f64_e32 v[30:31], v[28:29]
	v_nop
	v_fma_f64 v[32:33], -v[28:29], v[30:31], 1.0
	s_delay_alu instid0(VALU_DEP_1) | instskip(NEXT) | instid1(VALU_DEP_1)
	v_fmac_f64_e32 v[30:31], v[30:31], v[32:33]
	v_fma_f64 v[32:33], -v[28:29], v[30:31], 1.0
	s_delay_alu instid0(VALU_DEP_1) | instskip(SKIP_1) | instid1(VALU_DEP_1)
	v_fmac_f64_e32 v[30:31], v[30:31], v[32:33]
	v_div_scale_f64 v[32:33], vcc_lo, v[6:7], v[22:23], v[6:7]
	v_mul_f64_e32 v[34:35], v[32:33], v[30:31]
	s_delay_alu instid0(VALU_DEP_1) | instskip(NEXT) | instid1(VALU_DEP_1)
	v_fma_f64 v[28:29], -v[28:29], v[34:35], v[32:33]
	v_div_fmas_f64 v[28:29], v[28:29], v[30:31], v[34:35]
	s_delay_alu instid0(VALU_DEP_1)
	v_div_fixup_f64 v[34:35], v[28:29], v[22:23], v[6:7]
.LBB0_11:
	s_or_b32 exec_lo, exec_lo, s0
	s_delay_alu instid0(VALU_DEP_1) | instskip(SKIP_1) | instid1(SALU_CYCLE_1)
	v_mul_f64_e32 v[6:7], v[26:27], v[34:35]
	s_or_b32 s0, s2, s4
	s_or_b32 s1, s3, s0
	s_delay_alu instid0(VALU_DEP_1) | instskip(SKIP_2) | instid1(VALU_DEP_2)
	v_fmac_f64_e32 v[6:7], v[14:15], v[24:25]
	v_mad_nc_u64_u32 v[14:15], 0xc80, v2, v[4:5]
	v_mov_b64_e32 v[4:5], 0
	v_lshl_add_u64 v[14:15], v[0:1], 3, v[14:15]
	global_store_b64 v[14:15], v[6:7], off
	s_wait_xcnt 0x0
	s_and_saveexec_b32 s0, s1
	s_cbranch_execz .LBB0_13
; %bb.12:
	v_mul_f64_e32 v[4:5], v[8:9], v[18:19]
	v_mul_f64_e32 v[6:7], v[8:9], v[16:17]
	v_add_f64_e32 v[10:11], v[10:11], v[20:21]
	s_delay_alu instid0(VALU_DEP_2) | instskip(NEXT) | instid1(VALU_DEP_2)
	v_fma_f64 v[4:5], v[12:13], v[4:5], -v[6:7]
	v_mul_f64_e32 v[6:7], v[10:11], v[10:11]
	s_delay_alu instid0(VALU_DEP_1) | instskip(NEXT) | instid1(VALU_DEP_1)
	v_div_scale_f64 v[10:11], null, v[6:7], v[6:7], v[4:5]
	v_rcp_f64_e32 v[12:13], v[10:11]
	v_nop
	s_delay_alu instid0(TRANS32_DEP_1) | instskip(NEXT) | instid1(VALU_DEP_1)
	v_fma_f64 v[14:15], -v[10:11], v[12:13], 1.0
	v_fmac_f64_e32 v[12:13], v[12:13], v[14:15]
	s_delay_alu instid0(VALU_DEP_1) | instskip(NEXT) | instid1(VALU_DEP_1)
	v_fma_f64 v[14:15], -v[10:11], v[12:13], 1.0
	v_fmac_f64_e32 v[12:13], v[12:13], v[14:15]
	v_div_scale_f64 v[14:15], vcc_lo, v[4:5], v[6:7], v[4:5]
	s_delay_alu instid0(VALU_DEP_1) | instskip(NEXT) | instid1(VALU_DEP_1)
	v_mul_f64_e32 v[16:17], v[14:15], v[12:13]
	v_fma_f64 v[10:11], -v[10:11], v[16:17], v[14:15]
	s_delay_alu instid0(VALU_DEP_1) | instskip(NEXT) | instid1(VALU_DEP_1)
	v_div_fmas_f64 v[10:11], v[10:11], v[12:13], v[16:17]
	v_div_fixup_f64 v[4:5], v[10:11], v[6:7], v[4:5]
.LBB0_13:
	s_or_b32 exec_lo, exec_lo, s0
	s_delay_alu instid0(VALU_DEP_1) | instskip(NEXT) | instid1(VALU_DEP_1)
	v_mul_f64_e32 v[10:11], v[26:27], v[4:5]
	v_fmac_f64_e32 v[10:11], v[8:9], v[24:25]
.LBB0_14:
	s_or_b32 exec_lo, exec_lo, s6
	v_mad_nc_u64_u32 v[4:5], 0x138800, v38, s[14:15]
	s_delay_alu instid0(VALU_DEP_1) | instskip(NEXT) | instid1(VALU_DEP_1)
	v_mad_nc_u64_u32 v[4:5], 0xc80, v2, v[4:5]
	v_mad_u32 v5, 0xc80, v3, v5
	s_delay_alu instid0(VALU_DEP_1)
	v_lshl_add_u64 v[0:1], v[0:1], 3, v[4:5]
	global_store_b64 v[0:1], v[10:11], off
	s_endpgm
	.section	.rodata,"a",@progbits
	.p2align	6, 0x0
	.amdhsa_kernel _Z14calculateForcePA400_A400_dS1_S1_S1_dddddd
		.amdhsa_group_segment_fixed_size 0
		.amdhsa_private_segment_fixed_size 0
		.amdhsa_kernarg_size 336
		.amdhsa_user_sgpr_count 2
		.amdhsa_user_sgpr_dispatch_ptr 0
		.amdhsa_user_sgpr_queue_ptr 0
		.amdhsa_user_sgpr_kernarg_segment_ptr 1
		.amdhsa_user_sgpr_dispatch_id 0
		.amdhsa_user_sgpr_kernarg_preload_length 0
		.amdhsa_user_sgpr_kernarg_preload_offset 0
		.amdhsa_user_sgpr_private_segment_size 0
		.amdhsa_wavefront_size32 1
		.amdhsa_uses_dynamic_stack 0
		.amdhsa_enable_private_segment 0
		.amdhsa_system_sgpr_workgroup_id_x 1
		.amdhsa_system_sgpr_workgroup_id_y 1
		.amdhsa_system_sgpr_workgroup_id_z 1
		.amdhsa_system_sgpr_workgroup_info 0
		.amdhsa_system_vgpr_workitem_id 2
		.amdhsa_next_free_vgpr 52
		.amdhsa_next_free_sgpr 26
		.amdhsa_named_barrier_count 0
		.amdhsa_reserve_vcc 1
		.amdhsa_float_round_mode_32 0
		.amdhsa_float_round_mode_16_64 0
		.amdhsa_float_denorm_mode_32 3
		.amdhsa_float_denorm_mode_16_64 3
		.amdhsa_fp16_overflow 0
		.amdhsa_memory_ordered 1
		.amdhsa_forward_progress 1
		.amdhsa_inst_pref_size 16
		.amdhsa_round_robin_scheduling 0
		.amdhsa_exception_fp_ieee_invalid_op 0
		.amdhsa_exception_fp_denorm_src 0
		.amdhsa_exception_fp_ieee_div_zero 0
		.amdhsa_exception_fp_ieee_overflow 0
		.amdhsa_exception_fp_ieee_underflow 0
		.amdhsa_exception_fp_ieee_inexact 0
		.amdhsa_exception_int_div_zero 0
	.end_amdhsa_kernel
	.text
.Lfunc_end0:
	.size	_Z14calculateForcePA400_A400_dS1_S1_S1_dddddd, .Lfunc_end0-_Z14calculateForcePA400_A400_dS1_S1_S1_dddddd
                                        ; -- End function
	.set _Z14calculateForcePA400_A400_dS1_S1_S1_dddddd.num_vgpr, 52
	.set _Z14calculateForcePA400_A400_dS1_S1_S1_dddddd.num_agpr, 0
	.set _Z14calculateForcePA400_A400_dS1_S1_S1_dddddd.numbered_sgpr, 26
	.set _Z14calculateForcePA400_A400_dS1_S1_S1_dddddd.num_named_barrier, 0
	.set _Z14calculateForcePA400_A400_dS1_S1_S1_dddddd.private_seg_size, 0
	.set _Z14calculateForcePA400_A400_dS1_S1_S1_dddddd.uses_vcc, 1
	.set _Z14calculateForcePA400_A400_dS1_S1_S1_dddddd.uses_flat_scratch, 0
	.set _Z14calculateForcePA400_A400_dS1_S1_S1_dddddd.has_dyn_sized_stack, 0
	.set _Z14calculateForcePA400_A400_dS1_S1_S1_dddddd.has_recursion, 0
	.set _Z14calculateForcePA400_A400_dS1_S1_S1_dddddd.has_indirect_call, 0
	.section	.AMDGPU.csdata,"",@progbits
; Kernel info:
; codeLenInByte = 1956
; TotalNumSgprs: 28
; NumVgprs: 52
; ScratchSize: 0
; MemoryBound: 0
; FloatMode: 240
; IeeeMode: 1
; LDSByteSize: 0 bytes/workgroup (compile time only)
; SGPRBlocks: 0
; VGPRBlocks: 3
; NumSGPRsForWavesPerEU: 28
; NumVGPRsForWavesPerEU: 52
; NamedBarCnt: 0
; Occupancy: 16
; WaveLimiterHint : 1
; COMPUTE_PGM_RSRC2:SCRATCH_EN: 0
; COMPUTE_PGM_RSRC2:USER_SGPR: 2
; COMPUTE_PGM_RSRC2:TRAP_HANDLER: 0
; COMPUTE_PGM_RSRC2:TGID_X_EN: 1
; COMPUTE_PGM_RSRC2:TGID_Y_EN: 1
; COMPUTE_PGM_RSRC2:TGID_Z_EN: 1
; COMPUTE_PGM_RSRC2:TIDIG_COMP_CNT: 2
	.text
	.protected	_Z9allenCahnPA400_A400_dS1_S1_S1_S1_S1_dddddddd ; -- Begin function _Z9allenCahnPA400_A400_dS1_S1_S1_S1_S1_dddddddd
	.globl	_Z9allenCahnPA400_A400_dS1_S1_S1_S1_S1_dddddddd
	.p2align	8
	.type	_Z9allenCahnPA400_A400_dS1_S1_S1_S1_S1_dddddddd,@function
_Z9allenCahnPA400_A400_dS1_S1_S1_S1_S1_dddddddd: ; @_Z9allenCahnPA400_A400_dS1_S1_S1_S1_S1_dddddddd
; %bb.0:
	s_load_b64 s[2:3], s[0:1], 0x7c
	s_bfe_u32 s5, ttmp6, 0x40014
	s_bfe_u32 s8, ttmp6, 0x40010
	;; [unrolled: 1-line block ×3, first 2 shown]
	s_lshr_b32 s4, ttmp7, 16
	s_and_b32 s7, ttmp7, 0xffff
	s_add_co_i32 s5, s5, 1
	s_add_co_i32 s8, s8, 1
	;; [unrolled: 1-line block ×3, first 2 shown]
	s_bfe_u32 s6, ttmp6, 0x40008
	s_bfe_u32 s9, ttmp6, 0x40004
	s_and_b32 s10, ttmp6, 15
	s_mul_i32 s5, s4, s5
	s_mul_i32 s8, s7, s8
	s_mul_i32 s11, ttmp9, s11
	s_getreg_b32 s12, hwreg(HW_REG_IB_STS2, 6, 4)
	s_add_co_i32 s6, s6, s5
	s_add_co_i32 s9, s9, s8
	;; [unrolled: 1-line block ×3, first 2 shown]
	v_and_b32_e32 v1, 0x3ff, v0
	s_wait_kmcnt 0x0
	s_and_b32 s3, s3, 0xffff
	s_lshr_b32 s5, s2, 16
	s_and_b32 s2, s2, 0xffff
	s_cmp_eq_u32 s12, 0
	v_bfe_u32 v2, v0, 10, 10
	v_bfe_u32 v0, v0, 20, 10
	s_cselect_b32 s8, ttmp9, s10
	s_cselect_b32 s4, s4, s6
	v_mad_u32 v10, s8, s2, v1
	s_cselect_b32 s2, s7, s9
	v_mad_u32 v14, s4, s3, v0
	v_mad_u32 v12, s2, s5, v2
	s_delay_alu instid0(VALU_DEP_3) | instskip(NEXT) | instid1(VALU_DEP_3)
	v_cmp_ne_u32_e64 s4, 0, v10
	v_cmp_ne_u32_e32 vcc_lo, 0, v14
	s_delay_alu instid0(VALU_DEP_3) | instskip(SKIP_1) | instid1(VALU_DEP_2)
	v_max3_u32 v0, v10, v12, v14
	v_cmp_ne_u32_e64 s2, 0, v12
	v_cmp_gt_u32_e64 s3, 0x18f, v0
	s_and_b32 s2, vcc_lo, s2
	s_delay_alu instid0(SALU_CYCLE_1) | instskip(NEXT) | instid1(SALU_CYCLE_1)
	s_and_b32 s2, s2, s3
	s_and_b32 s2, s4, s2
	s_delay_alu instid0(SALU_CYCLE_1)
	s_and_saveexec_b32 s3, s2
	s_cbranch_execz .LBB1_10
; %bb.1:
	s_load_b256 s[4:11], s[0:1], 0x0
	v_mov_b32_e32 v15, 0
	s_load_b128 s[24:27], s[0:1], 0x30
	s_delay_alu instid0(VALU_DEP_1) | instskip(SKIP_2) | instid1(VALU_DEP_1)
	v_mov_b32_e32 v11, v15
	s_wait_kmcnt 0x0
	v_mad_nc_u64_u32 v[0:1], 0x138800, v14, s[6:7]
	v_mad_nc_u64_u32 v[0:1], 0xc80, v12, v[0:1]
	s_delay_alu instid0(VALU_DEP_1)
	v_lshl_add_u64 v[4:5], v[10:11], 3, v[0:1]
	s_clause 0x5
	global_load_b64 v[6:7], v[4:5], off offset:-1280000
	global_load_b64 v[8:9], v[4:5], off offset:1280000
	global_load_b64 v[16:17], v[4:5], off offset:3200
	global_load_b64 v[18:19], v[4:5], off offset:-3200
	global_load_b64 v[20:21], v[4:5], off offset:8
	global_load_b128 v[0:3], v[4:5], off offset:-8
	s_clause 0x1
	s_load_b256 s[12:19], s[0:1], 0x40
	s_load_b128 s[20:23], s[0:1], 0x60
	s_wait_kmcnt 0x0
	v_add_f64_e64 v[4:5], s[18:19], s[18:19]
	s_wait_loadcnt 0x4
	v_add_f64_e64 v[22:23], v[8:9], -v[6:7]
	v_add_f64_e64 v[6:7], s[20:21], s[20:21]
	s_wait_loadcnt 0x2
	v_add_f64_e64 v[16:17], v[16:17], -v[18:19]
	;; [unrolled: 3-line block ×3, first 2 shown]
	v_div_scale_f64 v[18:19], null, v[4:5], v[4:5], v[22:23]
	s_delay_alu instid0(VALU_DEP_4) | instskip(NEXT) | instid1(VALU_DEP_3)
	v_div_scale_f64 v[20:21], null, v[6:7], v[6:7], v[16:17]
	v_div_scale_f64 v[24:25], null, v[8:9], v[8:9], v[0:1]
	v_div_scale_f64 v[38:39], vcc_lo, v[22:23], v[4:5], v[22:23]
	s_delay_alu instid0(VALU_DEP_4) | instskip(NEXT) | instid1(VALU_DEP_3)
	v_rcp_f64_e32 v[26:27], v[18:19]
	v_rcp_f64_e32 v[28:29], v[20:21]
	s_delay_alu instid0(VALU_DEP_2) | instskip(NEXT) | instid1(TRANS32_DEP_3)
	v_rcp_f64_e32 v[30:31], v[24:25]
	v_fma_f64 v[32:33], -v[18:19], v[26:27], 1.0
	s_delay_alu instid0(TRANS32_DEP_2) | instskip(NEXT) | instid1(TRANS32_DEP_1)
	v_fma_f64 v[34:35], -v[20:21], v[28:29], 1.0
	v_fma_f64 v[36:37], -v[24:25], v[30:31], 1.0
	s_delay_alu instid0(VALU_DEP_3) | instskip(NEXT) | instid1(VALU_DEP_3)
	v_fmac_f64_e32 v[26:27], v[26:27], v[32:33]
	v_fmac_f64_e32 v[28:29], v[28:29], v[34:35]
	s_delay_alu instid0(VALU_DEP_3) | instskip(NEXT) | instid1(VALU_DEP_3)
	v_fmac_f64_e32 v[30:31], v[30:31], v[36:37]
	v_fma_f64 v[32:33], -v[18:19], v[26:27], 1.0
	s_delay_alu instid0(VALU_DEP_3) | instskip(NEXT) | instid1(VALU_DEP_3)
	v_fma_f64 v[34:35], -v[20:21], v[28:29], 1.0
	v_fma_f64 v[36:37], -v[24:25], v[30:31], 1.0
	s_delay_alu instid0(VALU_DEP_3) | instskip(SKIP_1) | instid1(VALU_DEP_4)
	v_fmac_f64_e32 v[26:27], v[26:27], v[32:33]
	v_div_scale_f64 v[32:33], s2, v[16:17], v[6:7], v[16:17]
	v_fmac_f64_e32 v[28:29], v[28:29], v[34:35]
	v_div_scale_f64 v[34:35], s3, v[0:1], v[8:9], v[0:1]
	v_fmac_f64_e32 v[30:31], v[30:31], v[36:37]
	v_mul_f64_e32 v[36:37], v[38:39], v[26:27]
	s_delay_alu instid0(VALU_DEP_4) | instskip(NEXT) | instid1(VALU_DEP_3)
	v_mul_f64_e32 v[40:41], v[32:33], v[28:29]
	v_mul_f64_e32 v[42:43], v[34:35], v[30:31]
	s_delay_alu instid0(VALU_DEP_3) | instskip(NEXT) | instid1(VALU_DEP_3)
	v_fma_f64 v[18:19], -v[18:19], v[36:37], v[38:39]
	v_fma_f64 v[20:21], -v[20:21], v[40:41], v[32:33]
	s_delay_alu instid0(VALU_DEP_3) | instskip(NEXT) | instid1(VALU_DEP_3)
	v_fma_f64 v[24:25], -v[24:25], v[42:43], v[34:35]
	v_div_fmas_f64 v[18:19], v[18:19], v[26:27], v[36:37]
	s_mov_b32 vcc_lo, s2
	s_delay_alu instid0(VALU_DEP_3) | instskip(SKIP_1) | instid1(VALU_DEP_3)
	v_div_fmas_f64 v[20:21], v[20:21], v[28:29], v[40:41]
	s_mov_b32 vcc_lo, s3
	v_div_fmas_f64 v[24:25], v[24:25], v[30:31], v[42:43]
	s_delay_alu instid0(VALU_DEP_3) | instskip(NEXT) | instid1(VALU_DEP_3)
	v_div_fixup_f64 v[22:23], v[18:19], v[4:5], v[22:23]
	v_div_fixup_f64 v[16:17], v[20:21], v[6:7], v[16:17]
	s_delay_alu instid0(VALU_DEP_3) | instskip(NEXT) | instid1(VALU_DEP_3)
	v_div_fixup_f64 v[20:21], v[24:25], v[8:9], v[0:1]
                                        ; implicit-def: $vgpr0_vgpr1
	v_cmp_eq_f64_e32 vcc_lo, 0, v[22:23]
	s_delay_alu instid0(VALU_DEP_3) | instskip(NEXT) | instid1(VALU_DEP_3)
	v_cmp_eq_f64_e64 s2, 0, v[16:17]
	v_cmp_eq_f64_e64 s3, 0, v[20:21]
	s_and_b32 s2, vcc_lo, s2
	s_delay_alu instid0(SALU_CYCLE_1) | instskip(NEXT) | instid1(SALU_CYCLE_1)
	s_and_b32 s2, s2, s3
	s_and_saveexec_b32 s3, s2
	s_delay_alu instid0(SALU_CYCLE_1)
	s_xor_b32 s3, exec_lo, s3
; %bb.2:
	v_mov_b64_e32 v[0:1], 1.0
	s_delay_alu instid0(VALU_DEP_1)
	v_fmamk_f64 v[0:1], s[24:25], 0xbffaaaaaaaaaaaab, v[0:1]
; %bb.3:
	s_or_saveexec_b32 s3, s3
	v_mul_f64_e32 v[24:25], v[16:17], v[16:17]
	v_mul_f64_e32 v[28:29], v[22:23], v[22:23]
	;; [unrolled: 1-line block ×3, first 2 shown]
	v_mul_f64_e64 v[16:17], s[24:25], 4.0
	s_load_b128 s[20:23], s[0:1], 0x20
	s_delay_alu instid0(VALU_DEP_4)
	v_mul_f64_e32 v[18:19], v[24:25], v[24:25]
	v_fmac_f64_e32 v[24:25], v[22:23], v[22:23]
	s_xor_b32 exec_lo, exec_lo, s3
	s_cbranch_execz .LBB1_5
; %bb.4:
	s_delay_alu instid0(VALU_DEP_2) | instskip(NEXT) | instid1(VALU_DEP_2)
	v_fma_f64 v[0:1], v[28:29], v[28:29], v[18:19]
	v_fma_f64 v[22:23], v[20:21], v[20:21], v[24:25]
	v_mov_b64_e32 v[30:31], 1.0
	s_delay_alu instid0(VALU_DEP_1) | instskip(NEXT) | instid1(VALU_DEP_1)
	v_fmamk_f64 v[30:31], s[24:25], 0xc0080000, v[30:31]
	v_div_scale_f64 v[32:33], null, v[30:31], v[30:31], v[16:17]
	v_div_scale_f64 v[44:45], vcc_lo, v[16:17], v[30:31], v[16:17]
	v_fmac_f64_e32 v[0:1], v[26:27], v[26:27]
	v_mul_f64_e32 v[22:23], v[22:23], v[22:23]
	s_delay_alu instid0(VALU_DEP_4) | instskip(NEXT) | instid1(VALU_DEP_1)
	v_rcp_f64_e32 v[36:37], v[32:33]
	v_div_scale_f64 v[34:35], null, v[22:23], v[22:23], v[0:1]
	s_delay_alu instid0(TRANS32_DEP_1) | instskip(NEXT) | instid1(VALU_DEP_2)
	v_fma_f64 v[40:41], -v[32:33], v[36:37], 1.0
	v_rcp_f64_e32 v[38:39], v[34:35]
	s_delay_alu instid0(VALU_DEP_1) | instskip(NEXT) | instid1(TRANS32_DEP_1)
	v_fmac_f64_e32 v[36:37], v[36:37], v[40:41]
	v_fma_f64 v[42:43], -v[34:35], v[38:39], 1.0
	s_delay_alu instid0(VALU_DEP_2) | instskip(NEXT) | instid1(VALU_DEP_2)
	v_fma_f64 v[40:41], -v[32:33], v[36:37], 1.0
	v_fmac_f64_e32 v[38:39], v[38:39], v[42:43]
	s_delay_alu instid0(VALU_DEP_2) | instskip(SKIP_2) | instid1(VALU_DEP_3)
	v_fmac_f64_e32 v[36:37], v[36:37], v[40:41]
	s_wait_xcnt 0x0
	v_div_scale_f64 v[40:41], s0, v[0:1], v[22:23], v[0:1]
	v_fma_f64 v[42:43], -v[34:35], v[38:39], 1.0
	s_delay_alu instid0(VALU_DEP_1) | instskip(NEXT) | instid1(VALU_DEP_4)
	v_fmac_f64_e32 v[38:39], v[38:39], v[42:43]
	v_mul_f64_e32 v[42:43], v[44:45], v[36:37]
	s_delay_alu instid0(VALU_DEP_2) | instskip(NEXT) | instid1(VALU_DEP_2)
	v_mul_f64_e32 v[46:47], v[40:41], v[38:39]
	v_fma_f64 v[32:33], -v[32:33], v[42:43], v[44:45]
	s_delay_alu instid0(VALU_DEP_2) | instskip(NEXT) | instid1(VALU_DEP_2)
	v_fma_f64 v[34:35], -v[34:35], v[46:47], v[40:41]
	v_div_fmas_f64 v[32:33], v[32:33], v[36:37], v[42:43]
	s_mov_b32 vcc_lo, s0
	s_delay_alu instid0(VALU_DEP_2) | instskip(NEXT) | instid1(VALU_DEP_2)
	v_div_fmas_f64 v[34:35], v[34:35], v[38:39], v[46:47]
	v_div_fixup_f64 v[32:33], v[32:33], v[30:31], v[16:17]
	s_delay_alu instid0(VALU_DEP_2) | instskip(NEXT) | instid1(VALU_DEP_1)
	v_div_fixup_f64 v[0:1], v[34:35], v[22:23], v[0:1]
	v_fma_f64 v[0:1], v[32:33], v[0:1], 1.0
	s_delay_alu instid0(VALU_DEP_1)
	v_mul_f64_e32 v[0:1], v[30:31], v[0:1]
.LBB1_5:
	s_or_b32 exec_lo, exec_lo, s3
                                        ; implicit-def: $vgpr22_vgpr23
	s_wait_xcnt 0x0
	s_and_saveexec_b32 s0, s2
	s_delay_alu instid0(SALU_CYCLE_1)
	s_xor_b32 s0, exec_lo, s0
	s_cbranch_execz .LBB1_7
; %bb.6:
	v_mov_b64_e32 v[16:17], 1.0
                                        ; implicit-def: $vgpr28_vgpr29
                                        ; implicit-def: $vgpr18_vgpr19
                                        ; implicit-def: $vgpr26_vgpr27
                                        ; implicit-def: $vgpr20_vgpr21
                                        ; implicit-def: $vgpr24_vgpr25
	s_delay_alu instid0(VALU_DEP_1)
	v_fmamk_f64 v[22:23], s[24:25], 0xbffaaaaaaaaaaaab, v[16:17]
                                        ; implicit-def: $vgpr16_vgpr17
	s_or_saveexec_b32 s1, s0
	v_mov_b32_e32 v13, v15
	s_xor_b32 exec_lo, exec_lo, s1
	s_cbranch_execnz .LBB1_8
	s_branch .LBB1_9
.LBB1_7:
	s_or_saveexec_b32 s1, s0
	v_mov_b32_e32 v13, v15
	s_xor_b32 exec_lo, exec_lo, s1
	s_cbranch_execz .LBB1_9
.LBB1_8:
	s_delay_alu instid0(VALU_DEP_3) | instskip(NEXT) | instid1(VALU_DEP_3)
	v_fmac_f64_e32 v[18:19], v[28:29], v[28:29]
	v_fmac_f64_e32 v[24:25], v[20:21], v[20:21]
	v_mov_b64_e32 v[22:23], 1.0
	s_delay_alu instid0(VALU_DEP_1) | instskip(NEXT) | instid1(VALU_DEP_1)
	v_fmamk_f64 v[22:23], s[24:25], 0xc0080000, v[22:23]
	v_div_scale_f64 v[36:37], vcc_lo, v[16:17], v[22:23], v[16:17]
	v_fmac_f64_e32 v[18:19], v[26:27], v[26:27]
	v_mul_f64_e32 v[20:21], v[24:25], v[24:25]
	v_div_scale_f64 v[24:25], null, v[22:23], v[22:23], v[16:17]
	s_delay_alu instid0(VALU_DEP_2) | instskip(NEXT) | instid1(VALU_DEP_2)
	v_div_scale_f64 v[26:27], null, v[20:21], v[20:21], v[18:19]
	v_rcp_f64_e32 v[28:29], v[24:25]
	s_delay_alu instid0(VALU_DEP_1) | instskip(NEXT) | instid1(TRANS32_DEP_2)
	v_rcp_f64_e32 v[30:31], v[26:27]
	v_fma_f64 v[32:33], -v[24:25], v[28:29], 1.0
	s_delay_alu instid0(TRANS32_DEP_1) | instskip(NEXT) | instid1(VALU_DEP_2)
	v_fma_f64 v[34:35], -v[26:27], v[30:31], 1.0
	v_fmac_f64_e32 v[28:29], v[28:29], v[32:33]
	s_delay_alu instid0(VALU_DEP_2) | instskip(NEXT) | instid1(VALU_DEP_2)
	v_fmac_f64_e32 v[30:31], v[30:31], v[34:35]
	v_fma_f64 v[32:33], -v[24:25], v[28:29], 1.0
	s_delay_alu instid0(VALU_DEP_2) | instskip(NEXT) | instid1(VALU_DEP_2)
	v_fma_f64 v[34:35], -v[26:27], v[30:31], 1.0
	v_fmac_f64_e32 v[28:29], v[28:29], v[32:33]
	v_div_scale_f64 v[32:33], s0, v[18:19], v[20:21], v[18:19]
	s_delay_alu instid0(VALU_DEP_3) | instskip(NEXT) | instid1(VALU_DEP_3)
	v_fmac_f64_e32 v[30:31], v[30:31], v[34:35]
	v_mul_f64_e32 v[34:35], v[36:37], v[28:29]
	s_delay_alu instid0(VALU_DEP_2) | instskip(NEXT) | instid1(VALU_DEP_2)
	v_mul_f64_e32 v[38:39], v[32:33], v[30:31]
	v_fma_f64 v[24:25], -v[24:25], v[34:35], v[36:37]
	s_delay_alu instid0(VALU_DEP_2) | instskip(NEXT) | instid1(VALU_DEP_2)
	v_fma_f64 v[26:27], -v[26:27], v[38:39], v[32:33]
	v_div_fmas_f64 v[24:25], v[24:25], v[28:29], v[34:35]
	s_mov_b32 vcc_lo, s0
	s_delay_alu instid0(VALU_DEP_2) | instskip(NEXT) | instid1(VALU_DEP_2)
	v_div_fmas_f64 v[26:27], v[26:27], v[30:31], v[38:39]
	v_div_fixup_f64 v[16:17], v[24:25], v[22:23], v[16:17]
	s_delay_alu instid0(VALU_DEP_2) | instskip(NEXT) | instid1(VALU_DEP_1)
	v_div_fixup_f64 v[18:19], v[26:27], v[20:21], v[18:19]
	v_fma_f64 v[16:17], v[16:17], v[18:19], 1.0
	s_delay_alu instid0(VALU_DEP_1)
	v_mul_f64_e32 v[22:23], v[22:23], v[16:17]
.LBB1_9:
	s_or_b32 exec_lo, exec_lo, s1
	v_mul_u64_e32 v[14:15], 0x138800, v[14:15]
	v_mul_u64_e32 v[12:13], 0xc80, v[12:13]
	v_lshlrev_b64_e32 v[10:11], 3, v[10:11]
	s_delay_alu instid0(VALU_DEP_4) | instskip(NEXT) | instid1(VALU_DEP_4)
	v_mul_f64_e32 v[0:1], v[0:1], v[22:23]
	v_add_nc_u64_e32 v[16:17], s[10:11], v[14:15]
	s_wait_kmcnt 0x0
	v_add_nc_u64_e32 v[18:19], s[20:21], v[14:15]
	s_delay_alu instid0(VALU_DEP_3) | instskip(NEXT) | instid1(VALU_DEP_3)
	v_mul_f64_e32 v[0:1], s[12:13], v[0:1]
	v_add_nc_u64_e32 v[16:17], v[16:17], v[12:13]
	s_delay_alu instid0(VALU_DEP_3) | instskip(NEXT) | instid1(VALU_DEP_2)
	v_add_nc_u64_e32 v[18:19], v[18:19], v[12:13]
	v_add_nc_u64_e32 v[16:17], v[16:17], v[10:11]
	s_delay_alu instid0(VALU_DEP_2)
	v_add_nc_u64_e32 v[18:19], v[18:19], v[10:11]
	s_clause 0x1
	global_load_b64 v[20:21], v[16:17], off offset:1280000
	global_load_b64 v[24:25], v[16:17], off offset:-1280000
	s_clause 0x1
	global_load_b64 v[26:27], v[18:19], off offset:3200
	global_load_b64 v[28:29], v[18:19], off offset:-3200
	s_wait_xcnt 0x2
	v_add_nc_u64_e32 v[16:17], s[22:23], v[14:15]
	s_delay_alu instid0(VALU_DEP_1) | instskip(SKIP_1) | instid1(VALU_DEP_2)
	v_add_nc_u64_e32 v[16:17], v[16:17], v[12:13]
	v_div_scale_f64 v[46:47], vcc_lo, s[16:17], v[0:1], s[16:17]
	v_add_nc_u64_e32 v[16:17], v[16:17], v[10:11]
	s_clause 0x1
	global_load_b64 v[18:19], v[16:17], off offset:8
	global_load_b64 v[30:31], v[16:17], off offset:-8
	s_wait_xcnt 0x0
	v_add_nc_u64_e32 v[16:17], s[8:9], v[14:15]
	s_delay_alu instid0(VALU_DEP_1) | instskip(NEXT) | instid1(VALU_DEP_1)
	v_add_nc_u64_e32 v[16:17], v[16:17], v[12:13]
	v_add_nc_u64_e32 v[16:17], v[16:17], v[10:11]
	global_load_b64 v[16:17], v[16:17], off
	s_wait_loadcnt 0x5
	v_add_f64_e64 v[20:21], v[20:21], -v[24:25]
	v_div_scale_f64 v[24:25], null, v[0:1], v[0:1], s[16:17]
	s_wait_loadcnt 0x3
	v_add_f64_e64 v[22:23], v[26:27], -v[28:29]
	s_wait_loadcnt 0x1
	v_add_f64_e64 v[18:19], v[18:19], -v[30:31]
	s_delay_alu instid0(VALU_DEP_4) | instskip(NEXT) | instid1(VALU_DEP_4)
	v_div_scale_f64 v[26:27], null, v[4:5], v[4:5], v[20:21]
	v_rcp_f64_e32 v[30:31], v[24:25]
	s_delay_alu instid0(VALU_DEP_3)
	v_div_scale_f64 v[28:29], null, v[6:7], v[6:7], v[22:23]
	v_div_scale_f64 v[48:49], s0, v[20:21], v[4:5], v[20:21]
	s_wait_loadcnt 0x0
	v_mul_f64_e32 v[16:17], s[14:15], v[16:17]
	v_div_scale_f64 v[32:33], null, v[8:9], v[8:9], v[18:19]
	v_div_scale_f64 v[50:51], s2, v[18:19], v[8:9], v[18:19]
	v_rcp_f64_e32 v[34:35], v[26:27]
	v_rcp_f64_e32 v[36:37], v[28:29]
	s_delay_alu instid0(TRANS32_DEP_3) | instskip(NEXT) | instid1(VALU_DEP_3)
	v_fma_f64 v[40:41], -v[24:25], v[30:31], 1.0
	v_rcp_f64_e32 v[38:39], v[32:33]
	s_delay_alu instid0(TRANS32_DEP_3) | instskip(NEXT) | instid1(VALU_DEP_2)
	v_fma_f64 v[42:43], -v[26:27], v[34:35], 1.0
	v_fmac_f64_e32 v[30:31], v[30:31], v[40:41]
	s_delay_alu instid0(TRANS32_DEP_2) | instskip(NEXT) | instid1(TRANS32_DEP_1)
	v_fma_f64 v[44:45], -v[28:29], v[36:37], 1.0
	v_fma_f64 v[40:41], -v[32:33], v[38:39], 1.0
	s_delay_alu instid0(VALU_DEP_4) | instskip(NEXT) | instid1(VALU_DEP_4)
	v_fmac_f64_e32 v[34:35], v[34:35], v[42:43]
	v_fma_f64 v[42:43], -v[24:25], v[30:31], 1.0
	s_delay_alu instid0(VALU_DEP_4) | instskip(NEXT) | instid1(VALU_DEP_4)
	v_fmac_f64_e32 v[36:37], v[36:37], v[44:45]
	v_fmac_f64_e32 v[38:39], v[38:39], v[40:41]
	s_delay_alu instid0(VALU_DEP_4) | instskip(NEXT) | instid1(VALU_DEP_4)
	v_fma_f64 v[40:41], -v[26:27], v[34:35], 1.0
	v_fmac_f64_e32 v[30:31], v[30:31], v[42:43]
	s_delay_alu instid0(VALU_DEP_4) | instskip(NEXT) | instid1(VALU_DEP_4)
	v_fma_f64 v[44:45], -v[28:29], v[36:37], 1.0
	v_fma_f64 v[42:43], -v[32:33], v[38:39], 1.0
	s_delay_alu instid0(VALU_DEP_4) | instskip(SKIP_1) | instid1(VALU_DEP_4)
	v_fmac_f64_e32 v[34:35], v[34:35], v[40:41]
	v_div_scale_f64 v[40:41], s1, v[22:23], v[6:7], v[22:23]
	v_fmac_f64_e32 v[36:37], v[36:37], v[44:45]
	v_mul_f64_e32 v[44:45], v[46:47], v[30:31]
	v_fmac_f64_e32 v[38:39], v[38:39], v[42:43]
	v_mul_f64_e32 v[42:43], v[48:49], v[34:35]
	s_delay_alu instid0(VALU_DEP_4) | instskip(NEXT) | instid1(VALU_DEP_4)
	v_mul_f64_e32 v[52:53], v[40:41], v[36:37]
	v_fma_f64 v[24:25], -v[24:25], v[44:45], v[46:47]
	s_delay_alu instid0(VALU_DEP_4) | instskip(NEXT) | instid1(VALU_DEP_4)
	v_mul_f64_e32 v[46:47], v[50:51], v[38:39]
	v_fma_f64 v[26:27], -v[26:27], v[42:43], v[48:49]
	s_delay_alu instid0(VALU_DEP_4) | instskip(NEXT) | instid1(VALU_DEP_4)
	v_fma_f64 v[28:29], -v[28:29], v[52:53], v[40:41]
	v_div_fmas_f64 v[24:25], v[24:25], v[30:31], v[44:45]
	s_mov_b32 vcc_lo, s0
	s_delay_alu instid0(VALU_DEP_4)
	v_fma_f64 v[30:31], -v[32:33], v[46:47], v[50:51]
	v_fma_f64 v[32:33], -v[2:3], v[2:3], 1.0
	v_div_fmas_f64 v[26:27], v[26:27], v[34:35], v[42:43]
	s_mov_b32 vcc_lo, s1
	v_div_fmas_f64 v[28:29], v[28:29], v[36:37], v[52:53]
	s_mov_b32 vcc_lo, s2
	v_div_fixup_f64 v[0:1], v[24:25], v[0:1], s[16:17]
	v_div_fmas_f64 v[30:31], v[30:31], v[38:39], v[46:47]
	s_delay_alu instid0(VALU_DEP_4) | instskip(SKIP_2) | instid1(VALU_DEP_4)
	v_div_fixup_f64 v[4:5], v[26:27], v[4:5], v[20:21]
	v_mul_f64_e32 v[20:21], v[2:3], v[32:33]
	v_div_fixup_f64 v[6:7], v[28:29], v[6:7], v[22:23]
	v_div_fixup_f64 v[8:9], v[30:31], v[8:9], v[18:19]
	s_delay_alu instid0(VALU_DEP_2) | instskip(SKIP_1) | instid1(VALU_DEP_2)
	v_add_f64_e32 v[4:5], v[4:5], v[6:7]
	v_mul_f64_e32 v[6:7], v[32:33], v[16:17]
	v_add_f64_e32 v[4:5], v[4:5], v[8:9]
	s_delay_alu instid0(VALU_DEP_2) | instskip(NEXT) | instid1(VALU_DEP_1)
	v_fma_f64 v[6:7], v[32:33], v[6:7], -v[20:21]
	v_add_f64_e64 v[4:5], v[4:5], -v[6:7]
	s_delay_alu instid0(VALU_DEP_1) | instskip(SKIP_1) | instid1(VALU_DEP_1)
	v_fmac_f64_e32 v[2:3], v[0:1], v[4:5]
	v_add_nc_u64_e32 v[0:1], s[4:5], v[14:15]
	v_add_nc_u64_e32 v[0:1], v[0:1], v[12:13]
	s_delay_alu instid0(VALU_DEP_1)
	v_add_nc_u64_e32 v[0:1], v[0:1], v[10:11]
	global_store_b64 v[0:1], v[2:3], off
.LBB1_10:
	s_endpgm
	.section	.rodata,"a",@progbits
	.p2align	6, 0x0
	.amdhsa_kernel _Z9allenCahnPA400_A400_dS1_S1_S1_S1_S1_dddddddd
		.amdhsa_group_segment_fixed_size 0
		.amdhsa_private_segment_fixed_size 0
		.amdhsa_kernarg_size 368
		.amdhsa_user_sgpr_count 2
		.amdhsa_user_sgpr_dispatch_ptr 0
		.amdhsa_user_sgpr_queue_ptr 0
		.amdhsa_user_sgpr_kernarg_segment_ptr 1
		.amdhsa_user_sgpr_dispatch_id 0
		.amdhsa_user_sgpr_kernarg_preload_length 0
		.amdhsa_user_sgpr_kernarg_preload_offset 0
		.amdhsa_user_sgpr_private_segment_size 0
		.amdhsa_wavefront_size32 1
		.amdhsa_uses_dynamic_stack 0
		.amdhsa_enable_private_segment 0
		.amdhsa_system_sgpr_workgroup_id_x 1
		.amdhsa_system_sgpr_workgroup_id_y 1
		.amdhsa_system_sgpr_workgroup_id_z 1
		.amdhsa_system_sgpr_workgroup_info 0
		.amdhsa_system_vgpr_workitem_id 2
		.amdhsa_next_free_vgpr 54
		.amdhsa_next_free_sgpr 28
		.amdhsa_named_barrier_count 0
		.amdhsa_reserve_vcc 1
		.amdhsa_float_round_mode_32 0
		.amdhsa_float_round_mode_16_64 0
		.amdhsa_float_denorm_mode_32 3
		.amdhsa_float_denorm_mode_16_64 3
		.amdhsa_fp16_overflow 0
		.amdhsa_memory_ordered 1
		.amdhsa_forward_progress 1
		.amdhsa_inst_pref_size 18
		.amdhsa_round_robin_scheduling 0
		.amdhsa_exception_fp_ieee_invalid_op 0
		.amdhsa_exception_fp_denorm_src 0
		.amdhsa_exception_fp_ieee_div_zero 0
		.amdhsa_exception_fp_ieee_overflow 0
		.amdhsa_exception_fp_ieee_underflow 0
		.amdhsa_exception_fp_ieee_inexact 0
		.amdhsa_exception_int_div_zero 0
	.end_amdhsa_kernel
	.text
.Lfunc_end1:
	.size	_Z9allenCahnPA400_A400_dS1_S1_S1_S1_S1_dddddddd, .Lfunc_end1-_Z9allenCahnPA400_A400_dS1_S1_S1_S1_S1_dddddddd
                                        ; -- End function
	.set _Z9allenCahnPA400_A400_dS1_S1_S1_S1_S1_dddddddd.num_vgpr, 54
	.set _Z9allenCahnPA400_A400_dS1_S1_S1_S1_S1_dddddddd.num_agpr, 0
	.set _Z9allenCahnPA400_A400_dS1_S1_S1_S1_S1_dddddddd.numbered_sgpr, 28
	.set _Z9allenCahnPA400_A400_dS1_S1_S1_S1_S1_dddddddd.num_named_barrier, 0
	.set _Z9allenCahnPA400_A400_dS1_S1_S1_S1_S1_dddddddd.private_seg_size, 0
	.set _Z9allenCahnPA400_A400_dS1_S1_S1_S1_S1_dddddddd.uses_vcc, 1
	.set _Z9allenCahnPA400_A400_dS1_S1_S1_S1_S1_dddddddd.uses_flat_scratch, 0
	.set _Z9allenCahnPA400_A400_dS1_S1_S1_S1_S1_dddddddd.has_dyn_sized_stack, 0
	.set _Z9allenCahnPA400_A400_dS1_S1_S1_S1_S1_dddddddd.has_recursion, 0
	.set _Z9allenCahnPA400_A400_dS1_S1_S1_S1_S1_dddddddd.has_indirect_call, 0
	.section	.AMDGPU.csdata,"",@progbits
; Kernel info:
; codeLenInByte = 2180
; TotalNumSgprs: 30
; NumVgprs: 54
; ScratchSize: 0
; MemoryBound: 0
; FloatMode: 240
; IeeeMode: 1
; LDSByteSize: 0 bytes/workgroup (compile time only)
; SGPRBlocks: 0
; VGPRBlocks: 3
; NumSGPRsForWavesPerEU: 30
; NumVGPRsForWavesPerEU: 54
; NamedBarCnt: 0
; Occupancy: 16
; WaveLimiterHint : 1
; COMPUTE_PGM_RSRC2:SCRATCH_EN: 0
; COMPUTE_PGM_RSRC2:USER_SGPR: 2
; COMPUTE_PGM_RSRC2:TRAP_HANDLER: 0
; COMPUTE_PGM_RSRC2:TGID_X_EN: 1
; COMPUTE_PGM_RSRC2:TGID_Y_EN: 1
; COMPUTE_PGM_RSRC2:TGID_Z_EN: 1
; COMPUTE_PGM_RSRC2:TIDIG_COMP_CNT: 2
	.text
	.protected	_Z21boundaryConditionsPhiPA400_A400_d ; -- Begin function _Z21boundaryConditionsPhiPA400_A400_d
	.globl	_Z21boundaryConditionsPhiPA400_A400_d
	.p2align	8
	.type	_Z21boundaryConditionsPhiPA400_A400_d,@function
_Z21boundaryConditionsPhiPA400_A400_d:  ; @_Z21boundaryConditionsPhiPA400_A400_d
; %bb.0:
	s_load_b64 s[2:3], s[0:1], 0x14
	s_bfe_u32 s5, ttmp6, 0x40014
	s_bfe_u32 s8, ttmp6, 0x40010
	;; [unrolled: 1-line block ×3, first 2 shown]
	s_lshr_b32 s4, ttmp7, 16
	s_and_b32 s7, ttmp7, 0xffff
	s_add_co_i32 s5, s5, 1
	s_add_co_i32 s8, s8, 1
	;; [unrolled: 1-line block ×3, first 2 shown]
	s_bfe_u32 s6, ttmp6, 0x40008
	s_bfe_u32 s9, ttmp6, 0x40004
	s_and_b32 s10, ttmp6, 15
	s_mul_i32 s5, s4, s5
	s_mul_i32 s8, s7, s8
	s_mul_i32 s11, ttmp9, s11
	s_getreg_b32 s12, hwreg(HW_REG_IB_STS2, 6, 4)
	s_add_co_i32 s6, s6, s5
	s_add_co_i32 s9, s9, s8
	;; [unrolled: 1-line block ×3, first 2 shown]
	v_and_b32_e32 v1, 0x3ff, v0
	s_wait_kmcnt 0x0
	s_and_b32 s3, s3, 0xffff
	s_lshr_b32 s5, s2, 16
	s_and_b32 s2, s2, 0xffff
	s_cmp_eq_u32 s12, 0
	v_bfe_u32 v2, v0, 10, 10
	v_bfe_u32 v3, v0, 20, 10
	s_cselect_b32 s8, ttmp9, s10
	s_cselect_b32 s4, s4, s6
	v_mad_u32 v0, s8, s2, v1
	s_cselect_b32 s2, s7, s9
	s_delay_alu instid0(SALU_CYCLE_1) | instskip(SKIP_2) | instid1(VALU_DEP_1)
	v_mad_u32 v1, s2, s5, v2
	v_mad_u32 v2, s4, s3, v3
	s_mov_b32 s2, exec_lo
	v_max3_u32 v3, v0, v1, v2
	s_delay_alu instid0(VALU_DEP_1)
	v_cmpx_gt_u32_e32 0x190, v3
	s_cbranch_execz .LBB2_22
; %bb.1:
	s_load_b64 s[0:1], s[0:1], 0x0
	s_mov_b32 s2, exec_lo
	v_cmpx_lt_i32_e32 0x18e, v2
	s_xor_b32 s2, exec_lo, s2
	s_cbranch_execz .LBB2_3
; %bb.2:
	s_wait_kmcnt 0x0
	v_mad_nc_u64_u32 v[2:3], 0xc80, v1, s[0:1]
	v_mov_b32_e32 v1, 0
	s_delay_alu instid0(VALU_DEP_1) | instskip(SKIP_1) | instid1(VALU_DEP_2)
	v_lshl_add_u64 v[0:1], v[0:1], 3, v[2:3]
	v_mov_b64_e32 v[2:3], -1.0
	v_add_co_u32 v0, vcc_lo, 0x1e000000, v0
	s_delay_alu instid0(VALU_DEP_1)
	v_add_co_ci_u32_e64 v1, null, 0, v1, vcc_lo
	global_store_b64 v[0:1], v[2:3], off offset:7403520
                                        ; implicit-def: $vgpr1
                                        ; implicit-def: $vgpr0
                                        ; implicit-def: $vgpr2
.LBB2_3:
	s_wait_xcnt 0x0
	s_and_not1_saveexec_b32 s2, s2
	s_cbranch_execz .LBB2_22
; %bb.4:
	s_mov_b32 s2, exec_lo
	v_cmpx_ne_u32_e32 0, v2
	s_xor_b32 s2, exec_lo, s2
	s_cbranch_execz .LBB2_20
; %bb.5:
	s_mov_b32 s3, exec_lo
	v_cmpx_lt_i32_e32 0x18e, v1
	s_xor_b32 s3, exec_lo, s3
	s_cbranch_execz .LBB2_7
; %bb.6:
	s_wait_kmcnt 0x0
	v_mad_nc_u64_u32 v[2:3], 0x138800, v2, s[0:1]
	v_mov_b32_e32 v1, 0
	v_mov_b64_e32 v[4:5], -1.0
	s_delay_alu instid0(VALU_DEP_2)
	v_lshl_add_u64 v[0:1], v[0:1], 3, v[2:3]
                                        ; implicit-def: $vgpr2
	global_store_b64 v[0:1], v[4:5], off offset:1276800
                                        ; implicit-def: $vgpr0
                                        ; implicit-def: $vgpr1
.LBB2_7:
	s_wait_xcnt 0x0
	s_and_not1_saveexec_b32 s3, s3
	s_cbranch_execz .LBB2_19
; %bb.8:
	s_mov_b32 s4, exec_lo
	v_cmpx_ne_u32_e32 0, v1
	s_xor_b32 s4, exec_lo, s4
	s_cbranch_execz .LBB2_16
; %bb.9:
	s_mov_b32 s5, exec_lo
	v_cmpx_lt_i32_e32 0x18e, v0
	s_xor_b32 s5, exec_lo, s5
	s_cbranch_execz .LBB2_11
; %bb.10:
	s_wait_kmcnt 0x0
	v_mad_nc_u64_u32 v[2:3], 0x138800, v2, s[0:1]
	s_delay_alu instid0(VALU_DEP_1)
	v_mad_nc_u64_u32 v[0:1], 0xc80, v1, v[2:3]
	v_mov_b64_e32 v[2:3], -1.0
	global_store_b64 v[0:1], v[2:3], off offset:3192
                                        ; implicit-def: $vgpr0
                                        ; implicit-def: $vgpr2
                                        ; implicit-def: $vgpr1
.LBB2_11:
	s_wait_xcnt 0x0
	s_and_not1_saveexec_b32 s5, s5
	s_cbranch_execz .LBB2_15
; %bb.12:
	s_mov_b32 s6, exec_lo
	v_cmpx_eq_u32_e32 0, v0
	s_cbranch_execz .LBB2_14
; %bb.13:
	s_wait_kmcnt 0x0
	v_mad_nc_u64_u32 v[2:3], 0x138800, v2, s[0:1]
	s_delay_alu instid0(VALU_DEP_1)
	v_mad_nc_u64_u32 v[0:1], 0xc80, v1, v[2:3]
	v_mov_b64_e32 v[2:3], -1.0
	global_store_b64 v[0:1], v[2:3], off
.LBB2_14:
	s_wait_xcnt 0x0
	s_or_b32 exec_lo, exec_lo, s6
.LBB2_15:
	s_delay_alu instid0(SALU_CYCLE_1)
	s_or_b32 exec_lo, exec_lo, s5
                                        ; implicit-def: $vgpr2
                                        ; implicit-def: $vgpr0
.LBB2_16:
	s_and_not1_saveexec_b32 s4, s4
	s_cbranch_execz .LBB2_18
; %bb.17:
	s_wait_kmcnt 0x0
	v_mad_nc_u64_u32 v[2:3], 0x138800, v2, s[0:1]
	v_mov_b32_e32 v1, 0
	v_mov_b64_e32 v[4:5], -1.0
	s_delay_alu instid0(VALU_DEP_2)
	v_lshl_add_u64 v[0:1], v[0:1], 3, v[2:3]
	global_store_b64 v[0:1], v[4:5], off
.LBB2_18:
	s_wait_xcnt 0x0
	s_or_b32 exec_lo, exec_lo, s4
.LBB2_19:
	s_delay_alu instid0(SALU_CYCLE_1)
	s_or_b32 exec_lo, exec_lo, s3
                                        ; implicit-def: $vgpr1
                                        ; implicit-def: $vgpr0
.LBB2_20:
	s_and_not1_saveexec_b32 s2, s2
	s_cbranch_execz .LBB2_22
; %bb.21:
	s_wait_kmcnt 0x0
	v_mad_nc_u64_u32 v[2:3], 0xc80, v1, s[0:1]
	v_mov_b32_e32 v1, 0
	v_mov_b64_e32 v[4:5], -1.0
	s_delay_alu instid0(VALU_DEP_2)
	v_lshl_add_u64 v[0:1], v[0:1], 3, v[2:3]
	global_store_b64 v[0:1], v[4:5], off
.LBB2_22:
	s_endpgm
	.section	.rodata,"a",@progbits
	.p2align	6, 0x0
	.amdhsa_kernel _Z21boundaryConditionsPhiPA400_A400_d
		.amdhsa_group_segment_fixed_size 0
		.amdhsa_private_segment_fixed_size 0
		.amdhsa_kernarg_size 264
		.amdhsa_user_sgpr_count 2
		.amdhsa_user_sgpr_dispatch_ptr 0
		.amdhsa_user_sgpr_queue_ptr 0
		.amdhsa_user_sgpr_kernarg_segment_ptr 1
		.amdhsa_user_sgpr_dispatch_id 0
		.amdhsa_user_sgpr_kernarg_preload_length 0
		.amdhsa_user_sgpr_kernarg_preload_offset 0
		.amdhsa_user_sgpr_private_segment_size 0
		.amdhsa_wavefront_size32 1
		.amdhsa_uses_dynamic_stack 0
		.amdhsa_enable_private_segment 0
		.amdhsa_system_sgpr_workgroup_id_x 1
		.amdhsa_system_sgpr_workgroup_id_y 1
		.amdhsa_system_sgpr_workgroup_id_z 1
		.amdhsa_system_sgpr_workgroup_info 0
		.amdhsa_system_vgpr_workitem_id 2
		.amdhsa_next_free_vgpr 6
		.amdhsa_next_free_sgpr 13
		.amdhsa_named_barrier_count 0
		.amdhsa_reserve_vcc 1
		.amdhsa_float_round_mode_32 0
		.amdhsa_float_round_mode_16_64 0
		.amdhsa_float_denorm_mode_32 3
		.amdhsa_float_denorm_mode_16_64 3
		.amdhsa_fp16_overflow 0
		.amdhsa_memory_ordered 1
		.amdhsa_forward_progress 1
		.amdhsa_inst_pref_size 6
		.amdhsa_round_robin_scheduling 0
		.amdhsa_exception_fp_ieee_invalid_op 0
		.amdhsa_exception_fp_denorm_src 0
		.amdhsa_exception_fp_ieee_div_zero 0
		.amdhsa_exception_fp_ieee_overflow 0
		.amdhsa_exception_fp_ieee_underflow 0
		.amdhsa_exception_fp_ieee_inexact 0
		.amdhsa_exception_int_div_zero 0
	.end_amdhsa_kernel
	.text
.Lfunc_end2:
	.size	_Z21boundaryConditionsPhiPA400_A400_d, .Lfunc_end2-_Z21boundaryConditionsPhiPA400_A400_d
                                        ; -- End function
	.set _Z21boundaryConditionsPhiPA400_A400_d.num_vgpr, 6
	.set _Z21boundaryConditionsPhiPA400_A400_d.num_agpr, 0
	.set _Z21boundaryConditionsPhiPA400_A400_d.numbered_sgpr, 13
	.set _Z21boundaryConditionsPhiPA400_A400_d.num_named_barrier, 0
	.set _Z21boundaryConditionsPhiPA400_A400_d.private_seg_size, 0
	.set _Z21boundaryConditionsPhiPA400_A400_d.uses_vcc, 1
	.set _Z21boundaryConditionsPhiPA400_A400_d.uses_flat_scratch, 0
	.set _Z21boundaryConditionsPhiPA400_A400_d.has_dyn_sized_stack, 0
	.set _Z21boundaryConditionsPhiPA400_A400_d.has_recursion, 0
	.set _Z21boundaryConditionsPhiPA400_A400_d.has_indirect_call, 0
	.section	.AMDGPU.csdata,"",@progbits
; Kernel info:
; codeLenInByte = 736
; TotalNumSgprs: 15
; NumVgprs: 6
; ScratchSize: 0
; MemoryBound: 0
; FloatMode: 240
; IeeeMode: 1
; LDSByteSize: 0 bytes/workgroup (compile time only)
; SGPRBlocks: 0
; VGPRBlocks: 0
; NumSGPRsForWavesPerEU: 15
; NumVGPRsForWavesPerEU: 6
; NamedBarCnt: 0
; Occupancy: 16
; WaveLimiterHint : 0
; COMPUTE_PGM_RSRC2:SCRATCH_EN: 0
; COMPUTE_PGM_RSRC2:USER_SGPR: 2
; COMPUTE_PGM_RSRC2:TRAP_HANDLER: 0
; COMPUTE_PGM_RSRC2:TGID_X_EN: 1
; COMPUTE_PGM_RSRC2:TGID_Y_EN: 1
; COMPUTE_PGM_RSRC2:TGID_Z_EN: 1
; COMPUTE_PGM_RSRC2:TIDIG_COMP_CNT: 2
	.text
	.protected	_Z15thermalEquationPA400_A400_dS1_S1_S1_ddddd ; -- Begin function _Z15thermalEquationPA400_A400_dS1_S1_S1_ddddd
	.globl	_Z15thermalEquationPA400_A400_dS1_S1_S1_ddddd
	.p2align	8
	.type	_Z15thermalEquationPA400_A400_dS1_S1_S1_ddddd,@function
_Z15thermalEquationPA400_A400_dS1_S1_S1_ddddd: ; @_Z15thermalEquationPA400_A400_dS1_S1_S1_ddddd
; %bb.0:
	s_load_b64 s[2:3], s[0:1], 0x54
	s_bfe_u32 s5, ttmp6, 0x40014
	s_bfe_u32 s8, ttmp6, 0x40010
	;; [unrolled: 1-line block ×3, first 2 shown]
	s_lshr_b32 s4, ttmp7, 16
	s_and_b32 s7, ttmp7, 0xffff
	s_add_co_i32 s5, s5, 1
	s_add_co_i32 s8, s8, 1
	;; [unrolled: 1-line block ×3, first 2 shown]
	s_bfe_u32 s6, ttmp6, 0x40008
	s_bfe_u32 s9, ttmp6, 0x40004
	s_and_b32 s10, ttmp6, 15
	s_mul_i32 s5, s4, s5
	s_mul_i32 s8, s7, s8
	s_mul_i32 s11, ttmp9, s11
	s_getreg_b32 s12, hwreg(HW_REG_IB_STS2, 6, 4)
	s_add_co_i32 s6, s6, s5
	s_add_co_i32 s9, s9, s8
	;; [unrolled: 1-line block ×3, first 2 shown]
	v_and_b32_e32 v1, 0x3ff, v0
	s_wait_kmcnt 0x0
	s_and_b32 s3, s3, 0xffff
	s_lshr_b32 s5, s2, 16
	s_and_b32 s2, s2, 0xffff
	s_cmp_eq_u32 s12, 0
	v_bfe_u32 v2, v0, 10, 10
	v_bfe_u32 v0, v0, 20, 10
	s_cselect_b32 s8, ttmp9, s10
	s_cselect_b32 s4, s4, s6
	v_mad_u32 v4, s8, s2, v1
	s_cselect_b32 s2, s7, s9
	v_mad_u32 v6, s4, s3, v0
	v_mad_u32 v2, s2, s5, v2
	s_delay_alu instid0(VALU_DEP_3) | instskip(NEXT) | instid1(VALU_DEP_3)
	v_cmp_ne_u32_e64 s4, 0, v4
	v_cmp_ne_u32_e32 vcc_lo, 0, v6
	s_delay_alu instid0(VALU_DEP_3) | instskip(SKIP_1) | instid1(VALU_DEP_2)
	v_max3_u32 v0, v4, v2, v6
	v_cmp_ne_u32_e64 s2, 0, v2
	v_cmp_gt_u32_e64 s3, 0x18f, v0
	s_and_b32 s2, vcc_lo, s2
	s_delay_alu instid0(SALU_CYCLE_1) | instskip(NEXT) | instid1(SALU_CYCLE_1)
	s_and_b32 s2, s2, s3
	s_and_b32 s2, s4, s2
	s_delay_alu instid0(SALU_CYCLE_1)
	s_and_saveexec_b32 s3, s2
	s_cbranch_execz .LBB3_2
; %bb.1:
	v_mov_b32_e32 v7, 0
	s_load_b512 s[4:19], s[0:1], 0x0
	s_delay_alu instid0(VALU_DEP_1) | instskip(SKIP_3) | instid1(VALU_DEP_1)
	v_mul_u64_e32 v[0:1], 0x138800, v[6:7]
	v_dual_mov_b32 v3, v7 :: v_dual_mov_b32 v5, v7
	s_wait_xcnt 0x0
	s_load_b64 s[0:1], s[0:1], 0x40
	v_mul_u64_e32 v[2:3], 0xc80, v[2:3]
	s_delay_alu instid0(VALU_DEP_2) | instskip(SKIP_3) | instid1(VALU_DEP_1)
	v_lshlrev_b64_e32 v[4:5], 3, v[4:5]
	s_wait_kmcnt 0x0
	v_mul_f64_e64 v[22:23], s[0:1], s[0:1]
	v_add_nc_u64_e32 v[8:9], s[6:7], v[0:1]
	v_add_nc_u64_e32 v[6:7], v[8:9], v[2:3]
	s_delay_alu instid0(VALU_DEP_1)
	v_add_nc_u64_e32 v[10:11], v[6:7], v[4:5]
	s_clause 0x5
	global_load_b64 v[12:13], v[10:11], off offset:-1280000
	global_load_b64 v[14:15], v[10:11], off offset:1280000
	global_load_b64 v[16:17], v[10:11], off offset:3200
	global_load_b64 v[18:19], v[10:11], off offset:-3200
	global_load_b128 v[6:9], v[10:11], off offset:-8
	global_load_b64 v[20:21], v[10:11], off offset:8
	s_wait_loadcnt 0x4
	s_wait_xcnt 0x0
	v_add_f64_e32 v[10:11], v[14:15], v[12:13]
	v_mul_f64_e64 v[14:15], s[16:17], s[16:17]
	s_wait_loadcnt 0x2
	v_add_f64_e32 v[12:13], v[16:17], v[18:19]
	v_mul_f64_e64 v[16:17], s[18:19], s[18:19]
	s_wait_loadcnt 0x0
	v_add_f64_e32 v[6:7], v[20:21], v[6:7]
	v_add_nc_u64_e32 v[18:19], s[8:9], v[0:1]
	v_add_nc_u64_e32 v[20:21], s[10:11], v[0:1]
	;; [unrolled: 1-line block ×3, first 2 shown]
	s_delay_alu instid0(VALU_DEP_3) | instskip(NEXT) | instid1(VALU_DEP_3)
	v_add_nc_u64_e32 v[18:19], v[18:19], v[2:3]
	v_add_nc_u64_e32 v[20:21], v[20:21], v[2:3]
	s_delay_alu instid0(VALU_DEP_3) | instskip(NEXT) | instid1(VALU_DEP_3)
	v_add_nc_u64_e32 v[0:1], v[0:1], v[2:3]
	v_add_nc_u64_e32 v[18:19], v[18:19], v[4:5]
	;; [unrolled: 3-line block ×3, first 2 shown]
	global_load_b64 v[28:29], v[18:19], off
	global_load_b64 v[30:31], v[20:21], off
	v_fmac_f64_e32 v[10:11], -2.0, v[8:9]
	v_fmac_f64_e32 v[12:13], -2.0, v[8:9]
	v_fmac_f64_e32 v[6:7], -2.0, v[8:9]
	s_delay_alu instid0(VALU_DEP_3) | instskip(NEXT) | instid1(VALU_DEP_3)
	v_div_scale_f64 v[24:25], null, v[14:15], v[14:15], v[10:11]
	v_div_scale_f64 v[26:27], null, v[16:17], v[16:17], v[12:13]
	s_wait_xcnt 0x0
	s_delay_alu instid0(VALU_DEP_3) | instskip(SKIP_3) | instid1(VALU_DEP_4)
	v_div_scale_f64 v[20:21], null, v[22:23], v[22:23], v[6:7]
	v_div_scale_f64 v[40:41], vcc_lo, v[10:11], v[14:15], v[10:11]
	v_div_scale_f64 v[42:43], s0, v[12:13], v[16:17], v[12:13]
	v_rcp_f64_e32 v[18:19], v[24:25]
	v_rcp_f64_e32 v[32:33], v[26:27]
	s_delay_alu instid0(VALU_DEP_3) | instskip(NEXT) | instid1(TRANS32_DEP_3)
	v_rcp_f64_e32 v[34:35], v[20:21]
	v_fma_f64 v[36:37], -v[24:25], v[18:19], 1.0
	s_delay_alu instid0(TRANS32_DEP_2) | instskip(NEXT) | instid1(VALU_DEP_2)
	v_fma_f64 v[38:39], -v[26:27], v[32:33], 1.0
	v_fmac_f64_e32 v[18:19], v[18:19], v[36:37]
	s_delay_alu instid0(TRANS32_DEP_1) | instskip(NEXT) | instid1(VALU_DEP_3)
	v_fma_f64 v[36:37], -v[20:21], v[34:35], 1.0
	v_fmac_f64_e32 v[32:33], v[32:33], v[38:39]
	s_delay_alu instid0(VALU_DEP_3) | instskip(NEXT) | instid1(VALU_DEP_3)
	v_fma_f64 v[38:39], -v[24:25], v[18:19], 1.0
	v_fmac_f64_e32 v[34:35], v[34:35], v[36:37]
	s_delay_alu instid0(VALU_DEP_3) | instskip(NEXT) | instid1(VALU_DEP_3)
	;; [unrolled: 3-line block ×3, first 2 shown]
	v_fma_f64 v[38:39], -v[20:21], v[34:35], 1.0
	v_fmac_f64_e32 v[32:33], v[32:33], v[36:37]
	v_div_scale_f64 v[36:37], s1, v[6:7], v[22:23], v[6:7]
	s_delay_alu instid0(VALU_DEP_4) | instskip(NEXT) | instid1(VALU_DEP_4)
	v_mul_f64_e32 v[44:45], v[40:41], v[18:19]
	v_fmac_f64_e32 v[34:35], v[34:35], v[38:39]
	s_delay_alu instid0(VALU_DEP_4) | instskip(NEXT) | instid1(VALU_DEP_3)
	v_mul_f64_e32 v[38:39], v[42:43], v[32:33]
	v_fma_f64 v[24:25], -v[24:25], v[44:45], v[40:41]
	s_delay_alu instid0(VALU_DEP_3) | instskip(NEXT) | instid1(VALU_DEP_3)
	v_mul_f64_e32 v[40:41], v[36:37], v[34:35]
	v_fma_f64 v[26:27], -v[26:27], v[38:39], v[42:43]
	s_delay_alu instid0(VALU_DEP_3) | instskip(SKIP_1) | instid1(VALU_DEP_3)
	v_div_fmas_f64 v[18:19], v[24:25], v[18:19], v[44:45]
	s_mov_b32 vcc_lo, s0
	v_fma_f64 v[20:21], -v[20:21], v[40:41], v[36:37]
	s_delay_alu instid0(VALU_DEP_3) | instskip(SKIP_1) | instid1(VALU_DEP_3)
	v_div_fmas_f64 v[24:25], v[26:27], v[32:33], v[38:39]
	s_mov_b32 vcc_lo, s1
	v_div_fixup_f64 v[10:11], v[18:19], v[14:15], v[10:11]
	s_delay_alu instid0(VALU_DEP_3) | instskip(NEXT) | instid1(VALU_DEP_3)
	v_div_fmas_f64 v[14:15], v[20:21], v[34:35], v[40:41]
	v_div_fixup_f64 v[12:13], v[24:25], v[16:17], v[12:13]
	s_wait_loadcnt 0x0
	v_add_f64_e64 v[16:17], v[28:29], -v[30:31]
	s_delay_alu instid0(VALU_DEP_3) | instskip(NEXT) | instid1(VALU_DEP_3)
	v_div_fixup_f64 v[6:7], v[14:15], v[22:23], v[6:7]
	v_add_f64_e32 v[10:11], v[10:11], v[12:13]
	s_delay_alu instid0(VALU_DEP_3) | instskip(SKIP_1) | instid1(VALU_DEP_3)
	v_fma_f64 v[8:9], 0.5, v[16:17], v[8:9]
	v_mul_f64_e64 v[12:13], s[12:13], s[14:15]
	v_add_f64_e32 v[6:7], v[10:11], v[6:7]
	s_delay_alu instid0(VALU_DEP_1)
	v_fmac_f64_e32 v[8:9], v[12:13], v[6:7]
	global_store_b64 v[0:1], v[8:9], off
.LBB3_2:
	s_endpgm
	.section	.rodata,"a",@progbits
	.p2align	6, 0x0
	.amdhsa_kernel _Z15thermalEquationPA400_A400_dS1_S1_S1_ddddd
		.amdhsa_group_segment_fixed_size 0
		.amdhsa_private_segment_fixed_size 0
		.amdhsa_kernarg_size 328
		.amdhsa_user_sgpr_count 2
		.amdhsa_user_sgpr_dispatch_ptr 0
		.amdhsa_user_sgpr_queue_ptr 0
		.amdhsa_user_sgpr_kernarg_segment_ptr 1
		.amdhsa_user_sgpr_dispatch_id 0
		.amdhsa_user_sgpr_kernarg_preload_length 0
		.amdhsa_user_sgpr_kernarg_preload_offset 0
		.amdhsa_user_sgpr_private_segment_size 0
		.amdhsa_wavefront_size32 1
		.amdhsa_uses_dynamic_stack 0
		.amdhsa_enable_private_segment 0
		.amdhsa_system_sgpr_workgroup_id_x 1
		.amdhsa_system_sgpr_workgroup_id_y 1
		.amdhsa_system_sgpr_workgroup_id_z 1
		.amdhsa_system_sgpr_workgroup_info 0
		.amdhsa_system_vgpr_workitem_id 2
		.amdhsa_next_free_vgpr 46
		.amdhsa_next_free_sgpr 20
		.amdhsa_named_barrier_count 0
		.amdhsa_reserve_vcc 1
		.amdhsa_float_round_mode_32 0
		.amdhsa_float_round_mode_16_64 0
		.amdhsa_float_denorm_mode_32 3
		.amdhsa_float_denorm_mode_16_64 3
		.amdhsa_fp16_overflow 0
		.amdhsa_memory_ordered 1
		.amdhsa_forward_progress 1
		.amdhsa_inst_pref_size 8
		.amdhsa_round_robin_scheduling 0
		.amdhsa_exception_fp_ieee_invalid_op 0
		.amdhsa_exception_fp_denorm_src 0
		.amdhsa_exception_fp_ieee_div_zero 0
		.amdhsa_exception_fp_ieee_overflow 0
		.amdhsa_exception_fp_ieee_underflow 0
		.amdhsa_exception_fp_ieee_inexact 0
		.amdhsa_exception_int_div_zero 0
	.end_amdhsa_kernel
	.text
.Lfunc_end3:
	.size	_Z15thermalEquationPA400_A400_dS1_S1_S1_ddddd, .Lfunc_end3-_Z15thermalEquationPA400_A400_dS1_S1_S1_ddddd
                                        ; -- End function
	.set _Z15thermalEquationPA400_A400_dS1_S1_S1_ddddd.num_vgpr, 46
	.set _Z15thermalEquationPA400_A400_dS1_S1_S1_ddddd.num_agpr, 0
	.set _Z15thermalEquationPA400_A400_dS1_S1_S1_ddddd.numbered_sgpr, 20
	.set _Z15thermalEquationPA400_A400_dS1_S1_S1_ddddd.num_named_barrier, 0
	.set _Z15thermalEquationPA400_A400_dS1_S1_S1_ddddd.private_seg_size, 0
	.set _Z15thermalEquationPA400_A400_dS1_S1_S1_ddddd.uses_vcc, 1
	.set _Z15thermalEquationPA400_A400_dS1_S1_S1_ddddd.uses_flat_scratch, 0
	.set _Z15thermalEquationPA400_A400_dS1_S1_S1_ddddd.has_dyn_sized_stack, 0
	.set _Z15thermalEquationPA400_A400_dS1_S1_S1_ddddd.has_recursion, 0
	.set _Z15thermalEquationPA400_A400_dS1_S1_S1_ddddd.has_indirect_call, 0
	.section	.AMDGPU.csdata,"",@progbits
; Kernel info:
; codeLenInByte = 916
; TotalNumSgprs: 22
; NumVgprs: 46
; ScratchSize: 0
; MemoryBound: 0
; FloatMode: 240
; IeeeMode: 1
; LDSByteSize: 0 bytes/workgroup (compile time only)
; SGPRBlocks: 0
; VGPRBlocks: 2
; NumSGPRsForWavesPerEU: 22
; NumVGPRsForWavesPerEU: 46
; NamedBarCnt: 0
; Occupancy: 16
; WaveLimiterHint : 1
; COMPUTE_PGM_RSRC2:SCRATCH_EN: 0
; COMPUTE_PGM_RSRC2:USER_SGPR: 2
; COMPUTE_PGM_RSRC2:TRAP_HANDLER: 0
; COMPUTE_PGM_RSRC2:TGID_X_EN: 1
; COMPUTE_PGM_RSRC2:TGID_Y_EN: 1
; COMPUTE_PGM_RSRC2:TGID_Z_EN: 1
; COMPUTE_PGM_RSRC2:TIDIG_COMP_CNT: 2
	.text
	.protected	_Z19boundaryConditionsUPA400_A400_dd ; -- Begin function _Z19boundaryConditionsUPA400_A400_dd
	.globl	_Z19boundaryConditionsUPA400_A400_dd
	.p2align	8
	.type	_Z19boundaryConditionsUPA400_A400_dd,@function
_Z19boundaryConditionsUPA400_A400_dd:   ; @_Z19boundaryConditionsUPA400_A400_dd
; %bb.0:
	s_load_b64 s[2:3], s[0:1], 0x1c
	s_bfe_u32 s5, ttmp6, 0x40014
	s_bfe_u32 s8, ttmp6, 0x40010
	;; [unrolled: 1-line block ×3, first 2 shown]
	s_lshr_b32 s4, ttmp7, 16
	s_and_b32 s7, ttmp7, 0xffff
	s_add_co_i32 s5, s5, 1
	s_add_co_i32 s8, s8, 1
	;; [unrolled: 1-line block ×3, first 2 shown]
	s_bfe_u32 s6, ttmp6, 0x40008
	s_bfe_u32 s9, ttmp6, 0x40004
	s_and_b32 s10, ttmp6, 15
	s_mul_i32 s5, s4, s5
	s_mul_i32 s8, s7, s8
	s_mul_i32 s11, ttmp9, s11
	s_getreg_b32 s12, hwreg(HW_REG_IB_STS2, 6, 4)
	s_add_co_i32 s6, s6, s5
	s_add_co_i32 s9, s9, s8
	;; [unrolled: 1-line block ×3, first 2 shown]
	v_and_b32_e32 v1, 0x3ff, v0
	s_wait_kmcnt 0x0
	s_and_b32 s3, s3, 0xffff
	s_lshr_b32 s5, s2, 16
	s_and_b32 s2, s2, 0xffff
	s_cmp_eq_u32 s12, 0
	v_bfe_u32 v2, v0, 10, 10
	v_bfe_u32 v3, v0, 20, 10
	s_cselect_b32 s8, ttmp9, s10
	s_cselect_b32 s4, s4, s6
	v_mad_u32 v0, s8, s2, v1
	s_cselect_b32 s2, s7, s9
	s_delay_alu instid0(SALU_CYCLE_1) | instskip(SKIP_2) | instid1(VALU_DEP_1)
	v_mad_u32 v1, s2, s5, v2
	v_mad_u32 v2, s4, s3, v3
	s_mov_b32 s2, exec_lo
	v_max3_u32 v3, v0, v1, v2
	s_delay_alu instid0(VALU_DEP_1)
	v_cmpx_gt_u32_e32 0x190, v3
	s_cbranch_execz .LBB4_22
; %bb.1:
	s_load_b128 s[0:3], s[0:1], 0x0
	s_mov_b32 s4, exec_lo
	v_cmpx_lt_i32_e32 0x18e, v2
	s_xor_b32 s4, exec_lo, s4
	s_cbranch_execz .LBB4_3
; %bb.2:
	s_wait_kmcnt 0x0
	v_mad_nc_u64_u32 v[2:3], 0xc80, v1, s[0:1]
	v_mov_b32_e32 v1, 0
	s_xor_b32 s5, s3, 0x80000000
	s_delay_alu instid0(VALU_DEP_1) | instskip(SKIP_1) | instid1(VALU_DEP_2)
	v_lshl_add_u64 v[0:1], v[0:1], 3, v[2:3]
	v_dual_mov_b32 v2, s2 :: v_dual_mov_b32 v3, s5
	v_add_co_u32 v0, vcc_lo, 0x1e000000, v0
	s_delay_alu instid0(VALU_DEP_1)
	v_add_co_ci_u32_e64 v1, null, 0, v1, vcc_lo
	global_store_b64 v[0:1], v[2:3], off offset:7403520
                                        ; implicit-def: $vgpr1
                                        ; implicit-def: $vgpr0
                                        ; implicit-def: $vgpr2
.LBB4_3:
	s_wait_xcnt 0x0
	s_and_not1_saveexec_b32 s4, s4
	s_cbranch_execz .LBB4_22
; %bb.4:
	s_mov_b32 s4, exec_lo
	v_cmpx_ne_u32_e32 0, v2
	s_xor_b32 s4, exec_lo, s4
	s_cbranch_execz .LBB4_20
; %bb.5:
	s_mov_b32 s5, exec_lo
	v_cmpx_lt_i32_e32 0x18e, v1
	s_xor_b32 s5, exec_lo, s5
	s_cbranch_execz .LBB4_7
; %bb.6:
	s_wait_kmcnt 0x0
	v_mad_nc_u64_u32 v[2:3], 0x138800, v2, s[0:1]
	v_dual_mov_b32 v1, 0 :: v_dual_mov_b32 v4, s2
	s_xor_b32 s6, s3, 0x80000000
	s_delay_alu instid0(SALU_CYCLE_1) | instskip(NEXT) | instid1(VALU_DEP_2)
	v_mov_b32_e32 v5, s6
	v_lshl_add_u64 v[0:1], v[0:1], 3, v[2:3]
                                        ; implicit-def: $vgpr2
	global_store_b64 v[0:1], v[4:5], off offset:1276800
                                        ; implicit-def: $vgpr0
                                        ; implicit-def: $vgpr1
.LBB4_7:
	s_wait_xcnt 0x0
	s_and_not1_saveexec_b32 s5, s5
	s_cbranch_execz .LBB4_19
; %bb.8:
	s_mov_b32 s6, exec_lo
	v_cmpx_ne_u32_e32 0, v1
	s_xor_b32 s6, exec_lo, s6
	s_cbranch_execz .LBB4_16
; %bb.9:
	s_mov_b32 s7, exec_lo
	v_cmpx_lt_i32_e32 0x18e, v0
	s_xor_b32 s7, exec_lo, s7
	s_cbranch_execz .LBB4_11
; %bb.10:
	s_wait_kmcnt 0x0
	v_mad_nc_u64_u32 v[2:3], 0x138800, v2, s[0:1]
	s_xor_b32 s8, s3, 0x80000000
	s_delay_alu instid0(VALU_DEP_1)
	v_mad_nc_u64_u32 v[0:1], 0xc80, v1, v[2:3]
	v_dual_mov_b32 v2, s2 :: v_dual_mov_b32 v3, s8
	global_store_b64 v[0:1], v[2:3], off offset:3192
                                        ; implicit-def: $vgpr0
                                        ; implicit-def: $vgpr2
                                        ; implicit-def: $vgpr1
.LBB4_11:
	s_wait_xcnt 0x0
	s_and_not1_saveexec_b32 s7, s7
	s_cbranch_execz .LBB4_15
; %bb.12:
	s_mov_b32 s8, exec_lo
	v_cmpx_eq_u32_e32 0, v0
	s_cbranch_execz .LBB4_14
; %bb.13:
	s_wait_kmcnt 0x0
	v_mad_nc_u64_u32 v[2:3], 0x138800, v2, s[0:1]
	s_xor_b32 s9, s3, 0x80000000
	s_delay_alu instid0(VALU_DEP_1)
	v_mad_nc_u64_u32 v[0:1], 0xc80, v1, v[2:3]
	v_dual_mov_b32 v2, s2 :: v_dual_mov_b32 v3, s9
	global_store_b64 v[0:1], v[2:3], off
.LBB4_14:
	s_wait_xcnt 0x0
	s_or_b32 exec_lo, exec_lo, s8
.LBB4_15:
	s_delay_alu instid0(SALU_CYCLE_1)
	s_or_b32 exec_lo, exec_lo, s7
                                        ; implicit-def: $vgpr2
                                        ; implicit-def: $vgpr0
.LBB4_16:
	s_and_not1_saveexec_b32 s6, s6
	s_cbranch_execz .LBB4_18
; %bb.17:
	s_wait_kmcnt 0x0
	v_mad_nc_u64_u32 v[2:3], 0x138800, v2, s[0:1]
	v_dual_mov_b32 v1, 0 :: v_dual_mov_b32 v4, s2
	s_xor_b32 s7, s3, 0x80000000
	s_delay_alu instid0(SALU_CYCLE_1) | instskip(NEXT) | instid1(VALU_DEP_2)
	v_mov_b32_e32 v5, s7
	v_lshl_add_u64 v[0:1], v[0:1], 3, v[2:3]
	global_store_b64 v[0:1], v[4:5], off
.LBB4_18:
	s_wait_xcnt 0x0
	s_or_b32 exec_lo, exec_lo, s6
.LBB4_19:
	s_delay_alu instid0(SALU_CYCLE_1)
	s_or_b32 exec_lo, exec_lo, s5
                                        ; implicit-def: $vgpr1
                                        ; implicit-def: $vgpr0
.LBB4_20:
	s_and_not1_saveexec_b32 s4, s4
	s_cbranch_execz .LBB4_22
; %bb.21:
	s_wait_kmcnt 0x0
	v_mad_nc_u64_u32 v[2:3], 0xc80, v1, s[0:1]
	v_dual_mov_b32 v1, 0 :: v_dual_mov_b32 v4, s2
	s_xor_b32 s0, s3, 0x80000000
	s_delay_alu instid0(SALU_CYCLE_1) | instskip(NEXT) | instid1(VALU_DEP_2)
	v_mov_b32_e32 v5, s0
	v_lshl_add_u64 v[0:1], v[0:1], 3, v[2:3]
	global_store_b64 v[0:1], v[4:5], off
.LBB4_22:
	s_endpgm
	.section	.rodata,"a",@progbits
	.p2align	6, 0x0
	.amdhsa_kernel _Z19boundaryConditionsUPA400_A400_dd
		.amdhsa_group_segment_fixed_size 0
		.amdhsa_private_segment_fixed_size 0
		.amdhsa_kernarg_size 272
		.amdhsa_user_sgpr_count 2
		.amdhsa_user_sgpr_dispatch_ptr 0
		.amdhsa_user_sgpr_queue_ptr 0
		.amdhsa_user_sgpr_kernarg_segment_ptr 1
		.amdhsa_user_sgpr_dispatch_id 0
		.amdhsa_user_sgpr_kernarg_preload_length 0
		.amdhsa_user_sgpr_kernarg_preload_offset 0
		.amdhsa_user_sgpr_private_segment_size 0
		.amdhsa_wavefront_size32 1
		.amdhsa_uses_dynamic_stack 0
		.amdhsa_enable_private_segment 0
		.amdhsa_system_sgpr_workgroup_id_x 1
		.amdhsa_system_sgpr_workgroup_id_y 1
		.amdhsa_system_sgpr_workgroup_id_z 1
		.amdhsa_system_sgpr_workgroup_info 0
		.amdhsa_system_vgpr_workitem_id 2
		.amdhsa_next_free_vgpr 6
		.amdhsa_next_free_sgpr 13
		.amdhsa_named_barrier_count 0
		.amdhsa_reserve_vcc 1
		.amdhsa_float_round_mode_32 0
		.amdhsa_float_round_mode_16_64 0
		.amdhsa_float_denorm_mode_32 3
		.amdhsa_float_denorm_mode_16_64 3
		.amdhsa_fp16_overflow 0
		.amdhsa_memory_ordered 1
		.amdhsa_forward_progress 1
		.amdhsa_inst_pref_size 7
		.amdhsa_round_robin_scheduling 0
		.amdhsa_exception_fp_ieee_invalid_op 0
		.amdhsa_exception_fp_denorm_src 0
		.amdhsa_exception_fp_ieee_div_zero 0
		.amdhsa_exception_fp_ieee_overflow 0
		.amdhsa_exception_fp_ieee_underflow 0
		.amdhsa_exception_fp_ieee_inexact 0
		.amdhsa_exception_int_div_zero 0
	.end_amdhsa_kernel
	.text
.Lfunc_end4:
	.size	_Z19boundaryConditionsUPA400_A400_dd, .Lfunc_end4-_Z19boundaryConditionsUPA400_A400_dd
                                        ; -- End function
	.set _Z19boundaryConditionsUPA400_A400_dd.num_vgpr, 6
	.set _Z19boundaryConditionsUPA400_A400_dd.num_agpr, 0
	.set _Z19boundaryConditionsUPA400_A400_dd.numbered_sgpr, 13
	.set _Z19boundaryConditionsUPA400_A400_dd.num_named_barrier, 0
	.set _Z19boundaryConditionsUPA400_A400_dd.private_seg_size, 0
	.set _Z19boundaryConditionsUPA400_A400_dd.uses_vcc, 1
	.set _Z19boundaryConditionsUPA400_A400_dd.uses_flat_scratch, 0
	.set _Z19boundaryConditionsUPA400_A400_dd.has_dyn_sized_stack, 0
	.set _Z19boundaryConditionsUPA400_A400_dd.has_recursion, 0
	.set _Z19boundaryConditionsUPA400_A400_dd.has_indirect_call, 0
	.section	.AMDGPU.csdata,"",@progbits
; Kernel info:
; codeLenInByte = 808
; TotalNumSgprs: 15
; NumVgprs: 6
; ScratchSize: 0
; MemoryBound: 0
; FloatMode: 240
; IeeeMode: 1
; LDSByteSize: 0 bytes/workgroup (compile time only)
; SGPRBlocks: 0
; VGPRBlocks: 0
; NumSGPRsForWavesPerEU: 15
; NumVGPRsForWavesPerEU: 6
; NamedBarCnt: 0
; Occupancy: 16
; WaveLimiterHint : 0
; COMPUTE_PGM_RSRC2:SCRATCH_EN: 0
; COMPUTE_PGM_RSRC2:USER_SGPR: 2
; COMPUTE_PGM_RSRC2:TRAP_HANDLER: 0
; COMPUTE_PGM_RSRC2:TGID_X_EN: 1
; COMPUTE_PGM_RSRC2:TGID_Y_EN: 1
; COMPUTE_PGM_RSRC2:TGID_Z_EN: 1
; COMPUTE_PGM_RSRC2:TIDIG_COMP_CNT: 2
	.text
	.protected	_Z8swapGridPA400_A400_dS1_ ; -- Begin function _Z8swapGridPA400_A400_dS1_
	.globl	_Z8swapGridPA400_A400_dS1_
	.p2align	8
	.type	_Z8swapGridPA400_A400_dS1_,@function
_Z8swapGridPA400_A400_dS1_:             ; @_Z8swapGridPA400_A400_dS1_
; %bb.0:
	s_load_b64 s[2:3], s[0:1], 0x1c
	s_bfe_u32 s5, ttmp6, 0x40014
	s_bfe_u32 s8, ttmp6, 0x40010
	;; [unrolled: 1-line block ×3, first 2 shown]
	s_lshr_b32 s4, ttmp7, 16
	s_and_b32 s7, ttmp7, 0xffff
	s_add_co_i32 s5, s5, 1
	s_add_co_i32 s8, s8, 1
	;; [unrolled: 1-line block ×3, first 2 shown]
	s_bfe_u32 s6, ttmp6, 0x40008
	s_bfe_u32 s9, ttmp6, 0x40004
	s_and_b32 s10, ttmp6, 15
	s_mul_i32 s5, s4, s5
	s_mul_i32 s8, s7, s8
	s_mul_i32 s11, ttmp9, s11
	s_getreg_b32 s12, hwreg(HW_REG_IB_STS2, 6, 4)
	s_add_co_i32 s6, s6, s5
	s_add_co_i32 s9, s9, s8
	;; [unrolled: 1-line block ×3, first 2 shown]
	v_and_b32_e32 v1, 0x3ff, v0
	s_wait_kmcnt 0x0
	s_and_b32 s3, s3, 0xffff
	s_lshr_b32 s5, s2, 16
	s_and_b32 s2, s2, 0xffff
	s_cmp_eq_u32 s12, 0
	v_bfe_u32 v2, v0, 10, 10
	v_bfe_u32 v3, v0, 20, 10
	s_cselect_b32 s8, ttmp9, s10
	s_cselect_b32 s4, s4, s6
	v_mad_u32 v0, s8, s2, v1
	s_cselect_b32 s2, s7, s9
	v_mad_u32 v1, s4, s3, v3
	v_mad_u32 v2, s2, s5, v2
	s_mov_b32 s2, exec_lo
	s_delay_alu instid0(VALU_DEP_1) | instskip(NEXT) | instid1(VALU_DEP_1)
	v_max3_u32 v3, v0, v2, v1
	v_cmpx_gt_u32_e32 0x190, v3
	s_cbranch_execz .LBB5_2
; %bb.1:
	s_load_b128 s[0:3], s[0:1], 0x0
	s_wait_kmcnt 0x0
	v_mad_nc_u64_u32 v[4:5], 0x138800, v1, s[2:3]
	v_mad_nc_u64_u32 v[6:7], 0x138800, v1, s[0:1]
	v_mov_b32_e32 v1, 0
	s_delay_alu instid0(VALU_DEP_1) | instskip(NEXT) | instid1(VALU_DEP_4)
	v_lshlrev_b64_e32 v[0:1], 3, v[0:1]
	v_mad_nc_u64_u32 v[4:5], 0xc80, v2, v[4:5]
	s_delay_alu instid0(VALU_DEP_4) | instskip(NEXT) | instid1(VALU_DEP_2)
	v_mad_nc_u64_u32 v[2:3], 0xc80, v2, v[6:7]
	v_add_nc_u64_e32 v[4:5], v[4:5], v[0:1]
	s_delay_alu instid0(VALU_DEP_2)
	v_add_nc_u64_e32 v[0:1], v[2:3], v[0:1]
	global_load_b64 v[2:3], v[4:5], off
	global_load_b64 v[6:7], v[0:1], off
	s_wait_loadcnt 0x1
	global_store_b64 v[0:1], v[2:3], off
	s_wait_loadcnt 0x0
	global_store_b64 v[4:5], v[6:7], off
.LBB5_2:
	s_endpgm
	.section	.rodata,"a",@progbits
	.p2align	6, 0x0
	.amdhsa_kernel _Z8swapGridPA400_A400_dS1_
		.amdhsa_group_segment_fixed_size 0
		.amdhsa_private_segment_fixed_size 0
		.amdhsa_kernarg_size 272
		.amdhsa_user_sgpr_count 2
		.amdhsa_user_sgpr_dispatch_ptr 0
		.amdhsa_user_sgpr_queue_ptr 0
		.amdhsa_user_sgpr_kernarg_segment_ptr 1
		.amdhsa_user_sgpr_dispatch_id 0
		.amdhsa_user_sgpr_kernarg_preload_length 0
		.amdhsa_user_sgpr_kernarg_preload_offset 0
		.amdhsa_user_sgpr_private_segment_size 0
		.amdhsa_wavefront_size32 1
		.amdhsa_uses_dynamic_stack 0
		.amdhsa_enable_private_segment 0
		.amdhsa_system_sgpr_workgroup_id_x 1
		.amdhsa_system_sgpr_workgroup_id_y 1
		.amdhsa_system_sgpr_workgroup_id_z 1
		.amdhsa_system_sgpr_workgroup_info 0
		.amdhsa_system_vgpr_workitem_id 2
		.amdhsa_next_free_vgpr 8
		.amdhsa_next_free_sgpr 13
		.amdhsa_named_barrier_count 0
		.amdhsa_reserve_vcc 0
		.amdhsa_float_round_mode_32 0
		.amdhsa_float_round_mode_16_64 0
		.amdhsa_float_denorm_mode_32 3
		.amdhsa_float_denorm_mode_16_64 3
		.amdhsa_fp16_overflow 0
		.amdhsa_memory_ordered 1
		.amdhsa_forward_progress 1
		.amdhsa_inst_pref_size 3
		.amdhsa_round_robin_scheduling 0
		.amdhsa_exception_fp_ieee_invalid_op 0
		.amdhsa_exception_fp_denorm_src 0
		.amdhsa_exception_fp_ieee_div_zero 0
		.amdhsa_exception_fp_ieee_overflow 0
		.amdhsa_exception_fp_ieee_underflow 0
		.amdhsa_exception_fp_ieee_inexact 0
		.amdhsa_exception_int_div_zero 0
	.end_amdhsa_kernel
	.text
.Lfunc_end5:
	.size	_Z8swapGridPA400_A400_dS1_, .Lfunc_end5-_Z8swapGridPA400_A400_dS1_
                                        ; -- End function
	.set _Z8swapGridPA400_A400_dS1_.num_vgpr, 8
	.set _Z8swapGridPA400_A400_dS1_.num_agpr, 0
	.set _Z8swapGridPA400_A400_dS1_.numbered_sgpr, 13
	.set _Z8swapGridPA400_A400_dS1_.num_named_barrier, 0
	.set _Z8swapGridPA400_A400_dS1_.private_seg_size, 0
	.set _Z8swapGridPA400_A400_dS1_.uses_vcc, 0
	.set _Z8swapGridPA400_A400_dS1_.uses_flat_scratch, 0
	.set _Z8swapGridPA400_A400_dS1_.has_dyn_sized_stack, 0
	.set _Z8swapGridPA400_A400_dS1_.has_recursion, 0
	.set _Z8swapGridPA400_A400_dS1_.has_indirect_call, 0
	.section	.AMDGPU.csdata,"",@progbits
; Kernel info:
; codeLenInByte = 368
; TotalNumSgprs: 13
; NumVgprs: 8
; ScratchSize: 0
; MemoryBound: 0
; FloatMode: 240
; IeeeMode: 1
; LDSByteSize: 0 bytes/workgroup (compile time only)
; SGPRBlocks: 0
; VGPRBlocks: 0
; NumSGPRsForWavesPerEU: 13
; NumVGPRsForWavesPerEU: 8
; NamedBarCnt: 0
; Occupancy: 16
; WaveLimiterHint : 0
; COMPUTE_PGM_RSRC2:SCRATCH_EN: 0
; COMPUTE_PGM_RSRC2:USER_SGPR: 2
; COMPUTE_PGM_RSRC2:TRAP_HANDLER: 0
; COMPUTE_PGM_RSRC2:TGID_X_EN: 1
; COMPUTE_PGM_RSRC2:TGID_Y_EN: 1
; COMPUTE_PGM_RSRC2:TGID_Z_EN: 1
; COMPUTE_PGM_RSRC2:TIDIG_COMP_CNT: 2
	.text
	.p2alignl 7, 3214868480
	.fill 96, 4, 3214868480
	.section	.AMDGPU.gpr_maximums,"",@progbits
	.set amdgpu.max_num_vgpr, 0
	.set amdgpu.max_num_agpr, 0
	.set amdgpu.max_num_sgpr, 0
	.text
	.type	__hip_cuid_84f135158b39a8c6,@object ; @__hip_cuid_84f135158b39a8c6
	.section	.bss,"aw",@nobits
	.globl	__hip_cuid_84f135158b39a8c6
__hip_cuid_84f135158b39a8c6:
	.byte	0                               ; 0x0
	.size	__hip_cuid_84f135158b39a8c6, 1

	.ident	"AMD clang version 22.0.0git (https://github.com/RadeonOpenCompute/llvm-project roc-7.2.4 26084 f58b06dce1f9c15707c5f808fd002e18c2accf7e)"
	.section	".note.GNU-stack","",@progbits
	.addrsig
	.addrsig_sym __hip_cuid_84f135158b39a8c6
	.amdgpu_metadata
---
amdhsa.kernels:
  - .args:
      - .address_space:  global
        .offset:         0
        .size:           8
        .value_kind:     global_buffer
      - .address_space:  global
        .offset:         8
        .size:           8
        .value_kind:     global_buffer
      - .address_space:  global
        .offset:         16
        .size:           8
        .value_kind:     global_buffer
      - .address_space:  global
        .offset:         24
        .size:           8
        .value_kind:     global_buffer
      - .offset:         32
        .size:           8
        .value_kind:     by_value
      - .offset:         40
        .size:           8
        .value_kind:     by_value
      - .offset:         48
        .size:           8
        .value_kind:     by_value
      - .offset:         56
        .size:           8
        .value_kind:     by_value
      - .offset:         64
        .size:           8
        .value_kind:     by_value
      - .offset:         72
        .size:           8
        .value_kind:     by_value
      - .offset:         80
        .size:           4
        .value_kind:     hidden_block_count_x
      - .offset:         84
        .size:           4
        .value_kind:     hidden_block_count_y
      - .offset:         88
        .size:           4
        .value_kind:     hidden_block_count_z
      - .offset:         92
        .size:           2
        .value_kind:     hidden_group_size_x
      - .offset:         94
        .size:           2
        .value_kind:     hidden_group_size_y
      - .offset:         96
        .size:           2
        .value_kind:     hidden_group_size_z
      - .offset:         98
        .size:           2
        .value_kind:     hidden_remainder_x
      - .offset:         100
        .size:           2
        .value_kind:     hidden_remainder_y
      - .offset:         102
        .size:           2
        .value_kind:     hidden_remainder_z
      - .offset:         120
        .size:           8
        .value_kind:     hidden_global_offset_x
      - .offset:         128
        .size:           8
        .value_kind:     hidden_global_offset_y
      - .offset:         136
        .size:           8
        .value_kind:     hidden_global_offset_z
      - .offset:         144
        .size:           2
        .value_kind:     hidden_grid_dims
    .group_segment_fixed_size: 0
    .kernarg_segment_align: 8
    .kernarg_segment_size: 336
    .language:       OpenCL C
    .language_version:
      - 2
      - 0
    .max_flat_workgroup_size: 1024
    .name:           _Z14calculateForcePA400_A400_dS1_S1_S1_dddddd
    .private_segment_fixed_size: 0
    .sgpr_count:     28
    .sgpr_spill_count: 0
    .symbol:         _Z14calculateForcePA400_A400_dS1_S1_S1_dddddd.kd
    .uniform_work_group_size: 1
    .uses_dynamic_stack: false
    .vgpr_count:     52
    .vgpr_spill_count: 0
    .wavefront_size: 32
  - .args:
      - .address_space:  global
        .offset:         0
        .size:           8
        .value_kind:     global_buffer
      - .address_space:  global
        .offset:         8
        .size:           8
        .value_kind:     global_buffer
      - .address_space:  global
        .offset:         16
        .size:           8
        .value_kind:     global_buffer
      - .address_space:  global
        .offset:         24
        .size:           8
        .value_kind:     global_buffer
      - .address_space:  global
        .offset:         32
        .size:           8
        .value_kind:     global_buffer
      - .address_space:  global
        .offset:         40
        .size:           8
        .value_kind:     global_buffer
      - .offset:         48
        .size:           8
        .value_kind:     by_value
      - .offset:         56
        .size:           8
        .value_kind:     by_value
      - .offset:         64
        .size:           8
        .value_kind:     by_value
      - .offset:         72
        .size:           8
        .value_kind:     by_value
      - .offset:         80
        .size:           8
        .value_kind:     by_value
      - .offset:         88
        .size:           8
        .value_kind:     by_value
      - .offset:         96
        .size:           8
        .value_kind:     by_value
      - .offset:         104
        .size:           8
        .value_kind:     by_value
      - .offset:         112
        .size:           4
        .value_kind:     hidden_block_count_x
      - .offset:         116
        .size:           4
        .value_kind:     hidden_block_count_y
      - .offset:         120
        .size:           4
        .value_kind:     hidden_block_count_z
      - .offset:         124
        .size:           2
        .value_kind:     hidden_group_size_x
      - .offset:         126
        .size:           2
        .value_kind:     hidden_group_size_y
      - .offset:         128
        .size:           2
        .value_kind:     hidden_group_size_z
      - .offset:         130
        .size:           2
        .value_kind:     hidden_remainder_x
      - .offset:         132
        .size:           2
        .value_kind:     hidden_remainder_y
      - .offset:         134
        .size:           2
        .value_kind:     hidden_remainder_z
      - .offset:         152
        .size:           8
        .value_kind:     hidden_global_offset_x
      - .offset:         160
        .size:           8
        .value_kind:     hidden_global_offset_y
      - .offset:         168
        .size:           8
        .value_kind:     hidden_global_offset_z
      - .offset:         176
        .size:           2
        .value_kind:     hidden_grid_dims
    .group_segment_fixed_size: 0
    .kernarg_segment_align: 8
    .kernarg_segment_size: 368
    .language:       OpenCL C
    .language_version:
      - 2
      - 0
    .max_flat_workgroup_size: 1024
    .name:           _Z9allenCahnPA400_A400_dS1_S1_S1_S1_S1_dddddddd
    .private_segment_fixed_size: 0
    .sgpr_count:     30
    .sgpr_spill_count: 0
    .symbol:         _Z9allenCahnPA400_A400_dS1_S1_S1_S1_S1_dddddddd.kd
    .uniform_work_group_size: 1
    .uses_dynamic_stack: false
    .vgpr_count:     54
    .vgpr_spill_count: 0
    .wavefront_size: 32
  - .args:
      - .address_space:  global
        .offset:         0
        .size:           8
        .value_kind:     global_buffer
      - .offset:         8
        .size:           4
        .value_kind:     hidden_block_count_x
      - .offset:         12
        .size:           4
        .value_kind:     hidden_block_count_y
      - .offset:         16
        .size:           4
        .value_kind:     hidden_block_count_z
      - .offset:         20
        .size:           2
        .value_kind:     hidden_group_size_x
      - .offset:         22
        .size:           2
        .value_kind:     hidden_group_size_y
      - .offset:         24
        .size:           2
        .value_kind:     hidden_group_size_z
      - .offset:         26
        .size:           2
        .value_kind:     hidden_remainder_x
      - .offset:         28
        .size:           2
        .value_kind:     hidden_remainder_y
      - .offset:         30
        .size:           2
        .value_kind:     hidden_remainder_z
      - .offset:         48
        .size:           8
        .value_kind:     hidden_global_offset_x
      - .offset:         56
        .size:           8
        .value_kind:     hidden_global_offset_y
      - .offset:         64
        .size:           8
        .value_kind:     hidden_global_offset_z
      - .offset:         72
        .size:           2
        .value_kind:     hidden_grid_dims
    .group_segment_fixed_size: 0
    .kernarg_segment_align: 8
    .kernarg_segment_size: 264
    .language:       OpenCL C
    .language_version:
      - 2
      - 0
    .max_flat_workgroup_size: 1024
    .name:           _Z21boundaryConditionsPhiPA400_A400_d
    .private_segment_fixed_size: 0
    .sgpr_count:     15
    .sgpr_spill_count: 0
    .symbol:         _Z21boundaryConditionsPhiPA400_A400_d.kd
    .uniform_work_group_size: 1
    .uses_dynamic_stack: false
    .vgpr_count:     6
    .vgpr_spill_count: 0
    .wavefront_size: 32
  - .args:
      - .address_space:  global
        .offset:         0
        .size:           8
        .value_kind:     global_buffer
      - .address_space:  global
        .offset:         8
        .size:           8
        .value_kind:     global_buffer
      - .address_space:  global
        .offset:         16
        .size:           8
        .value_kind:     global_buffer
      - .address_space:  global
        .offset:         24
        .size:           8
        .value_kind:     global_buffer
      - .offset:         32
        .size:           8
        .value_kind:     by_value
      - .offset:         40
        .size:           8
        .value_kind:     by_value
      - .offset:         48
        .size:           8
        .value_kind:     by_value
      - .offset:         56
        .size:           8
        .value_kind:     by_value
      - .offset:         64
        .size:           8
        .value_kind:     by_value
      - .offset:         72
        .size:           4
        .value_kind:     hidden_block_count_x
      - .offset:         76
        .size:           4
        .value_kind:     hidden_block_count_y
      - .offset:         80
        .size:           4
        .value_kind:     hidden_block_count_z
      - .offset:         84
        .size:           2
        .value_kind:     hidden_group_size_x
      - .offset:         86
        .size:           2
        .value_kind:     hidden_group_size_y
      - .offset:         88
        .size:           2
        .value_kind:     hidden_group_size_z
      - .offset:         90
        .size:           2
        .value_kind:     hidden_remainder_x
      - .offset:         92
        .size:           2
        .value_kind:     hidden_remainder_y
      - .offset:         94
        .size:           2
        .value_kind:     hidden_remainder_z
      - .offset:         112
        .size:           8
        .value_kind:     hidden_global_offset_x
      - .offset:         120
        .size:           8
        .value_kind:     hidden_global_offset_y
      - .offset:         128
        .size:           8
        .value_kind:     hidden_global_offset_z
      - .offset:         136
        .size:           2
        .value_kind:     hidden_grid_dims
    .group_segment_fixed_size: 0
    .kernarg_segment_align: 8
    .kernarg_segment_size: 328
    .language:       OpenCL C
    .language_version:
      - 2
      - 0
    .max_flat_workgroup_size: 1024
    .name:           _Z15thermalEquationPA400_A400_dS1_S1_S1_ddddd
    .private_segment_fixed_size: 0
    .sgpr_count:     22
    .sgpr_spill_count: 0
    .symbol:         _Z15thermalEquationPA400_A400_dS1_S1_S1_ddddd.kd
    .uniform_work_group_size: 1
    .uses_dynamic_stack: false
    .vgpr_count:     46
    .vgpr_spill_count: 0
    .wavefront_size: 32
  - .args:
      - .address_space:  global
        .offset:         0
        .size:           8
        .value_kind:     global_buffer
      - .offset:         8
        .size:           8
        .value_kind:     by_value
      - .offset:         16
        .size:           4
        .value_kind:     hidden_block_count_x
      - .offset:         20
        .size:           4
        .value_kind:     hidden_block_count_y
      - .offset:         24
        .size:           4
        .value_kind:     hidden_block_count_z
      - .offset:         28
        .size:           2
        .value_kind:     hidden_group_size_x
      - .offset:         30
        .size:           2
        .value_kind:     hidden_group_size_y
      - .offset:         32
        .size:           2
        .value_kind:     hidden_group_size_z
      - .offset:         34
        .size:           2
        .value_kind:     hidden_remainder_x
      - .offset:         36
        .size:           2
        .value_kind:     hidden_remainder_y
      - .offset:         38
        .size:           2
        .value_kind:     hidden_remainder_z
      - .offset:         56
        .size:           8
        .value_kind:     hidden_global_offset_x
      - .offset:         64
        .size:           8
        .value_kind:     hidden_global_offset_y
      - .offset:         72
        .size:           8
        .value_kind:     hidden_global_offset_z
      - .offset:         80
        .size:           2
        .value_kind:     hidden_grid_dims
    .group_segment_fixed_size: 0
    .kernarg_segment_align: 8
    .kernarg_segment_size: 272
    .language:       OpenCL C
    .language_version:
      - 2
      - 0
    .max_flat_workgroup_size: 1024
    .name:           _Z19boundaryConditionsUPA400_A400_dd
    .private_segment_fixed_size: 0
    .sgpr_count:     15
    .sgpr_spill_count: 0
    .symbol:         _Z19boundaryConditionsUPA400_A400_dd.kd
    .uniform_work_group_size: 1
    .uses_dynamic_stack: false
    .vgpr_count:     6
    .vgpr_spill_count: 0
    .wavefront_size: 32
  - .args:
      - .address_space:  global
        .offset:         0
        .size:           8
        .value_kind:     global_buffer
      - .address_space:  global
        .offset:         8
        .size:           8
        .value_kind:     global_buffer
      - .offset:         16
        .size:           4
        .value_kind:     hidden_block_count_x
      - .offset:         20
        .size:           4
        .value_kind:     hidden_block_count_y
      - .offset:         24
        .size:           4
        .value_kind:     hidden_block_count_z
      - .offset:         28
        .size:           2
        .value_kind:     hidden_group_size_x
      - .offset:         30
        .size:           2
        .value_kind:     hidden_group_size_y
      - .offset:         32
        .size:           2
        .value_kind:     hidden_group_size_z
      - .offset:         34
        .size:           2
        .value_kind:     hidden_remainder_x
      - .offset:         36
        .size:           2
        .value_kind:     hidden_remainder_y
      - .offset:         38
        .size:           2
        .value_kind:     hidden_remainder_z
      - .offset:         56
        .size:           8
        .value_kind:     hidden_global_offset_x
      - .offset:         64
        .size:           8
        .value_kind:     hidden_global_offset_y
      - .offset:         72
        .size:           8
        .value_kind:     hidden_global_offset_z
      - .offset:         80
        .size:           2
        .value_kind:     hidden_grid_dims
    .group_segment_fixed_size: 0
    .kernarg_segment_align: 8
    .kernarg_segment_size: 272
    .language:       OpenCL C
    .language_version:
      - 2
      - 0
    .max_flat_workgroup_size: 1024
    .name:           _Z8swapGridPA400_A400_dS1_
    .private_segment_fixed_size: 0
    .sgpr_count:     13
    .sgpr_spill_count: 0
    .symbol:         _Z8swapGridPA400_A400_dS1_.kd
    .uniform_work_group_size: 1
    .uses_dynamic_stack: false
    .vgpr_count:     8
    .vgpr_spill_count: 0
    .wavefront_size: 32
amdhsa.target:   amdgcn-amd-amdhsa--gfx1250
amdhsa.version:
  - 1
  - 2
...

	.end_amdgpu_metadata
